;; amdgpu-corpus repo=ROCm/rocFFT kind=compiled arch=gfx906 opt=O3
	.text
	.amdgcn_target "amdgcn-amd-amdhsa--gfx906"
	.amdhsa_code_object_version 6
	.protected	bluestein_single_fwd_len1014_dim1_dp_op_CI_CI ; -- Begin function bluestein_single_fwd_len1014_dim1_dp_op_CI_CI
	.globl	bluestein_single_fwd_len1014_dim1_dp_op_CI_CI
	.p2align	8
	.type	bluestein_single_fwd_len1014_dim1_dp_op_CI_CI,@function
bluestein_single_fwd_len1014_dim1_dp_op_CI_CI: ; @bluestein_single_fwd_len1014_dim1_dp_op_CI_CI
; %bb.0:
	s_load_dwordx4 s[16:19], s[4:5], 0x28
	v_mul_u32_u24_e32 v1, 0x349, v0
	s_mov_b64 s[50:51], s[2:3]
	v_lshrrev_b32_e32 v1, 16, v1
	s_mov_b64 s[48:49], s[0:1]
	v_lshl_add_u32 v6, s6, 1, v1
	v_mov_b32_e32 v7, 0
	s_add_u32 s48, s48, s7
	s_waitcnt lgkmcnt(0)
	v_cmp_gt_u64_e32 vcc, s[16:17], v[6:7]
	s_addc_u32 s49, s49, 0
	s_and_saveexec_b64 s[0:1], vcc
	s_cbranch_execz .LBB0_10
; %bb.1:
	s_load_dwordx4 s[0:3], s[4:5], 0x18
	s_load_dwordx4 s[12:15], s[4:5], 0x0
	v_mul_lo_u16_e32 v2, 0x4e, v1
	v_sub_u16_e32 v28, v0, v2
	s_mov_b32 s30, 0x42a4c3d2
	s_waitcnt lgkmcnt(0)
	s_load_dwordx4 s[8:11], s[0:1], 0x0
	v_mov_b32_e32 v8, s13
	s_mov_b32 s38, 0x66966769
	s_mov_b32 s20, 0x2ef20147
	;; [unrolled: 1-line block ×3, first 2 shown]
	s_waitcnt lgkmcnt(0)
	v_mad_u64_u32 v[2:3], s[0:1], s10, v6, 0
	v_mad_u64_u32 v[4:5], s[0:1], s8, v28, 0
	v_mov_b32_e32 v0, v3
	s_mul_i32 s6, s9, 0x4e0
	v_mov_b32_e32 v3, v5
	v_mov_b32_e32 v5, v6
	buffer_store_dword v5, off, s[48:51], 0 offset:4 ; 4-byte Folded Spill
	s_nop 0
	buffer_store_dword v6, off, s[48:51], 0 offset:8 ; 4-byte Folded Spill
	s_mul_hi_u32 s7, s8, 0x4e0
	s_add_i32 s6, s7, s6
	s_mul_i32 s7, s8, 0x4e0
	s_movk_i32 s8, 0x1000
	v_mov_b32_e32 v27, s6
	s_mov_b32 s36, 0x4bc48dbf
	s_mov_b32 s25, 0xbfddbe06
	;; [unrolled: 1-line block ×20, first 2 shown]
	v_mad_u64_u32 v[5:6], s[0:1], s11, v6, v[0:1]
	v_mad_u64_u32 v[6:7], s[0:1], s9, v28, v[3:4]
	v_mov_b32_e32 v3, v5
	v_lshlrev_b64 v[2:3], 4, v[2:3]
	v_mov_b32_e32 v5, v6
	v_mov_b32_e32 v0, s19
	v_lshlrev_b64 v[4:5], 4, v[4:5]
	v_add_co_u32_e32 v2, vcc, s18, v2
	v_addc_co_u32_e32 v0, vcc, v0, v3, vcc
	v_add_co_u32_e32 v6, vcc, v2, v4
	v_addc_co_u32_e32 v7, vcc, v0, v5, vcc
	v_lshlrev_b32_e32 v0, 4, v28
	v_add_co_u32_e64 v232, s[0:1], s12, v0
	v_addc_co_u32_e64 v26, vcc, 0, v8, s[0:1]
	v_mov_b32_e32 v8, s6
	v_add_co_u32_e32 v14, vcc, s7, v6
	global_load_dwordx4 v[2:5], v[6:7], off
	v_addc_co_u32_e32 v15, vcc, v7, v8, vcc
	global_load_dwordx4 v[48:51], v0, s[12:13]
	global_load_dwordx4 v[118:121], v0, s[12:13] offset:1248
	v_mov_b32_e32 v6, s6
	v_add_co_u32_e32 v16, vcc, s7, v14
	v_addc_co_u32_e32 v17, vcc, v15, v6, vcc
	global_load_dwordx4 v[6:9], v[14:15], off
	global_load_dwordx4 v[10:13], v[16:17], off
	v_mov_b32_e32 v14, s6
	v_add_co_u32_e32 v22, vcc, s7, v16
	v_addc_co_u32_e32 v23, vcc, v17, v14, vcc
	global_load_dwordx4 v[32:35], v0, s[12:13] offset:2496
	global_load_dwordx4 v[106:109], v0, s[12:13] offset:3744
	v_add_co_u32_e32 v24, vcc, s7, v22
	v_addc_co_u32_e32 v25, vcc, v23, v14, vcc
	global_load_dwordx4 v[14:17], v[22:23], off
	global_load_dwordx4 v[18:21], v[24:25], off
	v_add_co_u32_e32 v22, vcc, s8, v232
	v_addc_co_u32_e32 v23, vcc, 0, v26, vcc
	v_add_co_u32_e32 v24, vcc, s7, v24
	v_addc_co_u32_e32 v25, vcc, v25, v27, vcc
	global_load_dwordx4 v[52:55], v[24:25], off
	global_load_dwordx4 v[44:47], v[22:23], off offset:896
	global_load_dwordx4 v[114:117], v[22:23], off offset:2144
	v_add_co_u32_e32 v24, vcc, s7, v24
	v_addc_co_u32_e32 v25, vcc, v25, v27, vcc
	global_load_dwordx4 v[56:59], v[24:25], off
	global_load_dwordx4 v[102:105], v[22:23], off offset:3392
	v_mov_b32_e32 v23, s6
	v_add_co_u32_e32 v22, vcc, s7, v24
	v_addc_co_u32_e32 v23, vcc, v25, v23, vcc
	s_movk_i32 s8, 0x2000
	v_add_co_u32_e32 v24, vcc, s8, v232
	v_addc_co_u32_e32 v25, vcc, 0, v26, vcc
	global_load_dwordx4 v[60:63], v[22:23], off
	v_add_co_u32_e32 v22, vcc, s7, v22
	v_addc_co_u32_e32 v23, vcc, v23, v27, vcc
	global_load_dwordx4 v[64:67], v[22:23], off
	global_load_dwordx4 v[40:43], v[24:25], off offset:544
	global_load_dwordx4 v[110:113], v[24:25], off offset:1792
	v_add_co_u32_e32 v22, vcc, s7, v22
	v_addc_co_u32_e32 v23, vcc, v23, v27, vcc
	global_load_dwordx4 v[68:71], v[22:23], off
	global_load_dwordx4 v[98:101], v[24:25], off offset:3040
	v_mov_b32_e32 v24, s6
	v_add_co_u32_e32 v22, vcc, s7, v22
	v_addc_co_u32_e32 v23, vcc, v23, v24, vcc
	s_movk_i32 s8, 0x3000
	v_add_co_u32_e32 v84, vcc, s8, v232
	v_addc_co_u32_e32 v85, vcc, 0, v26, vcc
	global_load_dwordx4 v[72:75], v[22:23], off
	v_add_co_u32_e32 v22, vcc, s7, v22
	v_addc_co_u32_e32 v23, vcc, v23, v24, vcc
	global_load_dwordx4 v[76:79], v[22:23], off
	global_load_dwordx4 v[36:39], v[84:85], off offset:192
	global_load_dwordx4 v[94:97], v[84:85], off offset:1440
	v_add_co_u32_e32 v22, vcc, s7, v22
	v_addc_co_u32_e32 v23, vcc, v23, v24, vcc
	global_load_dwordx4 v[80:83], v[22:23], off
	global_load_dwordx4 v[24:27], v[84:85], off offset:2688
	v_and_b32_e32 v1, 1, v1
	v_cmp_eq_u32_e32 vcc, 1, v1
	s_mov_b32 s18, 0xe00740e9
	s_mov_b32 s6, 0xb2365da1
	;; [unrolled: 1-line block ×3, first 2 shown]
	s_waitcnt vmcnt(24)
	v_mul_f64 v[84:85], v[2:3], v[50:51]
	v_mul_f64 v[22:23], v[4:5], v[50:51]
	s_mov_b32 s7, 0xbfd6b1d8
	s_waitcnt vmcnt(22)
	v_mul_f64 v[86:87], v[8:9], v[120:121]
	v_mul_f64 v[88:89], v[6:7], v[120:121]
	v_fma_f64 v[4:5], v[4:5], v[48:49], -v[84:85]
	v_fma_f64 v[2:3], v[2:3], v[48:49], v[22:23]
	s_waitcnt vmcnt(20)
	v_mul_f64 v[90:91], v[12:13], v[34:35]
	v_mul_f64 v[22:23], v[10:11], v[34:35]
	v_fma_f64 v[6:7], v[6:7], v[118:119], v[86:87]
	buffer_store_dword v118, off, s[48:51], 0 offset:128 ; 4-byte Folded Spill
	s_nop 0
	buffer_store_dword v119, off, s[48:51], 0 offset:132 ; 4-byte Folded Spill
	buffer_store_dword v120, off, s[48:51], 0 offset:136 ; 4-byte Folded Spill
	;; [unrolled: 1-line block ×3, first 2 shown]
	s_waitcnt vmcnt(22)
	v_mul_f64 v[84:85], v[16:17], v[108:109]
	v_mul_f64 v[92:93], v[14:15], v[108:109]
	v_fma_f64 v[10:11], v[10:11], v[32:33], v[90:91]
	v_fma_f64 v[12:13], v[12:13], v[32:33], -v[22:23]
	v_mov_b32_e32 v22, 0x3f60
	v_fma_f64 v[14:15], v[14:15], v[106:107], v[84:85]
	buffer_store_dword v106, off, s[48:51], 0 offset:64 ; 4-byte Folded Spill
	s_nop 0
	buffer_store_dword v107, off, s[48:51], 0 offset:68 ; 4-byte Folded Spill
	buffer_store_dword v108, off, s[48:51], 0 offset:72 ; 4-byte Folded Spill
	;; [unrolled: 1-line block ×3, first 2 shown]
	s_waitcnt vmcnt(23)
	v_mul_f64 v[86:87], v[20:21], v[46:47]
	s_load_dwordx4 s[8:11], s[2:3], 0x0
	s_mov_b32 s2, 0xebaa3ed8
	s_mov_b32 s3, 0x3fbedb7d
	v_fma_f64 v[84:85], v[18:19], v[44:45], v[86:87]
	v_fma_f64 v[8:9], v[8:9], v[118:119], -v[88:89]
	v_mul_f64 v[88:89], v[18:19], v[46:47]
	v_cndmask_b32_e32 v18, 0, v22, vcc
	v_add_u32_e32 v19, v18, v0
	s_waitcnt vmcnt(22)
	v_mul_f64 v[0:1], v[54:55], v[116:117]
	s_waitcnt vmcnt(14)
	v_mul_f64 v[22:23], v[68:69], v[100:101]
	v_cmp_gt_u16_e32 vcc, 13, v28
	v_fma_f64 v[86:87], v[20:21], v[44:45], -v[88:89]
	v_fma_f64 v[16:17], v[16:17], v[106:107], -v[92:93]
	ds_write_b128 v19, v[2:5]
	ds_write_b128 v19, v[6:9] offset:1248
	ds_write_b128 v19, v[10:13] offset:2496
	;; [unrolled: 1-line block ×4, first 2 shown]
	v_mul_f64 v[4:5], v[58:59], v[104:105]
	v_mul_f64 v[2:3], v[52:53], v[116:117]
	;; [unrolled: 1-line block ×3, first 2 shown]
	v_fma_f64 v[0:1], v[52:53], v[114:115], v[0:1]
	buffer_store_dword v114, off, s[48:51], 0 offset:96 ; 4-byte Folded Spill
	s_nop 0
	buffer_store_dword v115, off, s[48:51], 0 offset:100 ; 4-byte Folded Spill
	buffer_store_dword v116, off, s[48:51], 0 offset:104 ; 4-byte Folded Spill
	;; [unrolled: 1-line block ×3, first 2 shown]
	v_mul_f64 v[8:9], v[62:63], v[42:43]
	v_mul_f64 v[12:13], v[66:67], v[112:113]
	;; [unrolled: 1-line block ×3, first 2 shown]
	v_fma_f64 v[4:5], v[56:57], v[102:103], v[4:5]
	buffer_store_dword v102, off, s[48:51], 0 offset:48 ; 4-byte Folded Spill
	s_nop 0
	buffer_store_dword v103, off, s[48:51], 0 offset:52 ; 4-byte Folded Spill
	buffer_store_dword v104, off, s[48:51], 0 offset:56 ; 4-byte Folded Spill
	;; [unrolled: 1-line block ×3, first 2 shown]
	s_waitcnt vmcnt(18)
	v_mul_f64 v[56:57], v[78:79], v[96:97]
	v_mul_f64 v[10:11], v[60:61], v[42:43]
	;; [unrolled: 1-line block ×3, first 2 shown]
	v_fma_f64 v[8:9], v[60:61], v[40:41], v[8:9]
	s_waitcnt vmcnt(16)
	v_mul_f64 v[60:61], v[82:83], v[26:27]
	v_fma_f64 v[12:13], v[64:65], v[110:111], v[12:13]
	buffer_store_dword v110, off, s[48:51], 0 offset:80 ; 4-byte Folded Spill
	s_nop 0
	buffer_store_dword v111, off, s[48:51], 0 offset:84 ; 4-byte Folded Spill
	buffer_store_dword v112, off, s[48:51], 0 offset:88 ; 4-byte Folded Spill
	buffer_store_dword v113, off, s[48:51], 0 offset:92 ; 4-byte Folded Spill
	v_fma_f64 v[20:21], v[68:69], v[98:99], v[16:17]
	buffer_store_dword v98, off, s[48:51], 0 offset:32 ; 4-byte Folded Spill
	s_nop 0
	buffer_store_dword v99, off, s[48:51], 0 offset:36 ; 4-byte Folded Spill
	buffer_store_dword v100, off, s[48:51], 0 offset:40 ; 4-byte Folded Spill
	;; [unrolled: 1-line block ×3, first 2 shown]
	v_fma_f64 v[56:57], v[76:77], v[94:95], v[56:57]
	v_fma_f64 v[10:11], v[62:63], v[40:41], -v[10:11]
	v_mul_f64 v[62:63], v[80:81], v[26:27]
	v_fma_f64 v[60:61], v[80:81], v[24:25], v[60:61]
	v_mul_f64 v[52:53], v[74:75], v[38:39]
	v_fma_f64 v[52:53], v[72:73], v[36:37], v[52:53]
	v_fma_f64 v[2:3], v[54:55], v[114:115], -v[2:3]
	v_mul_f64 v[54:55], v[72:73], v[38:39]
	v_fma_f64 v[6:7], v[58:59], v[102:103], -v[6:7]
	v_mul_f64 v[58:59], v[76:77], v[96:97]
	buffer_store_dword v94, off, s[48:51], 0 offset:16 ; 4-byte Folded Spill
	s_nop 0
	buffer_store_dword v95, off, s[48:51], 0 offset:20 ; 4-byte Folded Spill
	buffer_store_dword v96, off, s[48:51], 0 offset:24 ; 4-byte Folded Spill
	;; [unrolled: 1-line block ×4, first 2 shown]
	s_nop 0
	buffer_store_dword v25, off, s[48:51], 0 offset:116 ; 4-byte Folded Spill
	buffer_store_dword v26, off, s[48:51], 0 offset:120 ; 4-byte Folded Spill
	;; [unrolled: 1-line block ×3, first 2 shown]
	v_fma_f64 v[54:55], v[74:75], v[36:37], -v[54:55]
	v_fma_f64 v[14:15], v[66:67], v[110:111], -v[14:15]
	;; [unrolled: 1-line block ×5, first 2 shown]
	ds_write_b128 v19, v[0:3] offset:6240
	ds_write_b128 v19, v[4:7] offset:7488
	;; [unrolled: 1-line block ×8, first 2 shown]
	s_waitcnt vmcnt(0) lgkmcnt(0)
	s_barrier
	ds_read_b128 v[56:59], v19
	ds_read_b128 v[0:3], v19 offset:1248
	ds_read_b128 v[4:7], v19 offset:2496
	;; [unrolled: 1-line block ×3, first 2 shown]
	s_waitcnt lgkmcnt(2)
	v_add_f64 v[12:13], v[56:57], v[0:1]
	v_add_f64 v[14:15], v[58:59], v[2:3]
	s_waitcnt lgkmcnt(1)
	v_add_f64 v[12:13], v[12:13], v[4:5]
	v_add_f64 v[14:15], v[14:15], v[6:7]
	;; [unrolled: 3-line block ×3, first 2 shown]
	ds_read_b128 v[12:15], v19 offset:4992
	ds_read_b128 v[20:23], v19 offset:6240
	;; [unrolled: 1-line block ×9, first 2 shown]
	s_waitcnt lgkmcnt(0)
	v_add_f64 v[16:17], v[16:17], v[12:13]
	v_add_f64 v[52:53], v[52:53], v[14:15]
	;; [unrolled: 1-line block ×4, first 2 shown]
	v_add_f64 v[0:1], v[0:1], -v[60:61]
	v_add_f64 v[84:85], v[20:21], v[88:89]
	v_add_f64 v[86:87], v[22:23], v[90:91]
	;; [unrolled: 1-line block ×7, first 2 shown]
	v_mul_f64 v[106:107], v[0:1], s[24:25]
	v_mul_f64 v[110:111], v[0:1], s[30:31]
	v_add_f64 v[92:93], v[96:97], v[100:101]
	v_add_f64 v[94:95], v[98:99], v[102:103]
	;; [unrolled: 1-line block ×4, first 2 shown]
	v_add_f64 v[96:97], v[96:97], -v[100:101]
	v_add_f64 v[98:99], v[98:99], -v[102:103]
	v_mul_f64 v[114:115], v[0:1], s[20:21]
	v_mul_f64 v[116:117], v[0:1], s[26:27]
	s_barrier
	v_add_f64 v[16:17], v[16:17], v[100:101]
	v_add_f64 v[52:53], v[52:53], v[102:103]
	buffer_store_dword v18, off, s[48:51], 0 ; 4-byte Folded Spill
	v_add_f64 v[16:17], v[16:17], v[88:89]
	v_add_f64 v[52:53], v[52:53], v[90:91]
	v_add_f64 v[88:89], v[20:21], -v[88:89]
	v_add_f64 v[90:91], v[22:23], -v[90:91]
	v_add_f64 v[16:17], v[16:17], v[80:81]
	v_add_f64 v[52:53], v[52:53], v[82:83]
	v_add_f64 v[80:81], v[12:13], -v[80:81]
	v_add_f64 v[82:83], v[14:15], -v[82:83]
	;; [unrolled: 4-line block ×3, first 2 shown]
	v_mul_f64 v[142:143], v[82:83], s[20:21]
	v_mul_f64 v[144:145], v[80:81], s[20:21]
	;; [unrolled: 1-line block ×3, first 2 shown]
	v_add_f64 v[16:17], v[16:17], v[64:65]
	v_add_f64 v[54:55], v[52:53], v[66:67]
	v_mul_f64 v[136:137], v[72:73], s[38:39]
	v_add_f64 v[52:53], v[16:17], v[60:61]
	v_add_f64 v[16:17], v[2:3], -v[62:63]
	v_add_f64 v[54:55], v[54:55], v[62:63]
	v_add_f64 v[2:3], v[2:3], v[62:63]
	;; [unrolled: 1-line block ×4, first 2 shown]
	v_add_f64 v[64:65], v[4:5], -v[64:65]
	v_add_f64 v[66:67], v[6:7], -v[66:67]
	v_mul_f64 v[4:5], v[16:17], s[24:25]
	v_mul_f64 v[6:7], v[16:17], s[30:31]
	;; [unrolled: 1-line block ×6, first 2 shown]
	v_fma_f64 v[112:113], v[2:3], s[18:19], v[106:107]
	v_fma_f64 v[106:107], v[2:3], s[18:19], -v[106:107]
	v_fma_f64 v[8:9], v[104:105], s[18:19], -v[4:5]
	v_fma_f64 v[4:5], v[104:105], s[18:19], v[4:5]
	v_fma_f64 v[12:13], v[104:105], s[16:17], -v[6:7]
	v_fma_f64 v[6:7], v[104:105], s[16:17], v[6:7]
	;; [unrolled: 2-line block ×6, first 2 shown]
	v_mul_f64 v[104:105], v[0:1], s[38:39]
	v_mul_f64 v[0:1], v[0:1], s[36:37]
	v_fma_f64 v[118:119], v[2:3], s[16:17], v[110:111]
	v_fma_f64 v[122:123], v[2:3], s[6:7], v[114:115]
	v_fma_f64 v[114:115], v[2:3], s[6:7], -v[114:115]
	v_fma_f64 v[110:111], v[2:3], s[16:17], -v[110:111]
	v_fma_f64 v[124:125], v[2:3], s[22:23], v[116:117]
	v_fma_f64 v[116:117], v[2:3], s[22:23], -v[116:117]
	v_fma_f64 v[120:121], v[2:3], s[2:3], v[104:105]
	v_fma_f64 v[126:127], v[2:3], s[28:29], v[0:1]
	v_fma_f64 v[128:129], v[2:3], s[28:29], -v[0:1]
	v_add_f64 v[0:1], v[56:57], v[8:9]
	v_add_f64 v[8:9], v[58:59], v[106:107]
	;; [unrolled: 1-line block ×4, first 2 shown]
	v_mul_f64 v[6:7], v[66:67], s[30:31]
	v_fma_f64 v[104:105], v[2:3], s[2:3], -v[104:105]
	v_add_f64 v[2:3], v[58:59], v[112:113]
	v_mul_f64 v[112:113], v[64:65], s[30:31]
	v_add_f64 v[130:131], v[56:57], v[10:11]
	v_add_f64 v[134:135], v[58:59], v[114:115]
	v_mul_f64 v[114:115], v[74:75], s[38:39]
	v_add_f64 v[132:133], v[56:57], v[20:21]
	v_fma_f64 v[10:11], v[60:61], s[16:17], -v[6:7]
	v_add_f64 v[140:141], v[56:57], v[22:23]
	v_add_f64 v[4:5], v[56:57], v[4:5]
	v_fma_f64 v[20:21], v[62:63], s[16:17], v[112:113]
	v_add_f64 v[138:139], v[56:57], v[102:103]
	v_fma_f64 v[102:103], v[70:71], s[2:3], v[136:137]
	v_fma_f64 v[22:23], v[68:69], s[2:3], -v[114:115]
	v_fma_f64 v[6:7], v[60:61], s[16:17], v[6:7]
	v_add_f64 v[10:11], v[10:11], v[0:1]
	v_add_f64 v[0:1], v[56:57], v[108:109]
	v_fma_f64 v[108:109], v[62:63], s[16:17], -v[112:113]
	v_add_f64 v[20:21], v[20:21], v[2:3]
	v_mul_f64 v[112:113], v[90:91], s[26:27]
	v_add_f64 v[2:3], v[58:59], v[126:127]
	v_mul_f64 v[126:127], v[88:89], s[26:27]
	v_add_f64 v[146:147], v[6:7], v[4:5]
	v_add_f64 v[10:11], v[22:23], v[10:11]
	v_fma_f64 v[22:23], v[76:77], s[6:7], -v[142:143]
	v_add_f64 v[8:9], v[108:109], v[8:9]
	v_add_f64 v[20:21], v[102:103], v[20:21]
	v_fma_f64 v[102:103], v[78:79], s[6:7], v[144:145]
	v_fma_f64 v[108:109], v[68:69], s[2:3], v[114:115]
	v_fma_f64 v[114:115], v[70:71], s[2:3], -v[136:137]
	v_add_f64 v[12:13], v[56:57], v[12:13]
	v_add_f64 v[110:111], v[58:59], v[110:111]
	;; [unrolled: 1-line block ×3, first 2 shown]
	v_fma_f64 v[22:23], v[84:85], s[22:23], -v[112:113]
	v_add_f64 v[14:15], v[56:57], v[14:15]
	v_add_f64 v[120:121], v[58:59], v[120:121]
	v_add_f64 v[104:105], v[58:59], v[104:105]
	v_add_f64 v[100:101], v[56:57], v[100:101]
	v_add_f64 v[122:123], v[58:59], v[122:123]
	v_add_f64 v[124:125], v[58:59], v[124:125]
	v_add_f64 v[116:117], v[58:59], v[116:117]
	v_add_f64 v[20:21], v[102:103], v[20:21]
	v_fma_f64 v[102:103], v[86:87], s[22:23], v[126:127]
	v_add_f64 v[4:5], v[56:57], v[16:17]
	v_add_f64 v[6:7], v[58:59], v[128:129]
	;; [unrolled: 1-line block ×4, first 2 shown]
	v_fma_f64 v[56:57], v[76:77], s[6:7], v[142:143]
	v_fma_f64 v[58:59], v[78:79], s[6:7], -v[144:145]
	v_add_f64 v[10:11], v[22:23], v[10:11]
	v_mul_f64 v[22:23], v[98:99], s[36:37]
	v_mul_f64 v[108:109], v[66:67], s[20:21]
	;; [unrolled: 1-line block ×3, first 2 shown]
	v_add_f64 v[20:21], v[102:103], v[20:21]
	v_mul_f64 v[102:103], v[96:97], s[36:37]
	v_add_f64 v[16:17], v[56:57], v[16:17]
	v_add_f64 v[8:9], v[58:59], v[8:9]
	v_fma_f64 v[56:57], v[84:85], s[22:23], v[112:113]
	v_fma_f64 v[58:59], v[86:87], s[22:23], -v[126:127]
	v_fma_f64 v[112:113], v[92:93], s[28:29], -v[22:23]
	;; [unrolled: 1-line block ×3, first 2 shown]
	v_fma_f64 v[136:137], v[62:63], s[6:7], v[128:129]
	v_mul_f64 v[142:143], v[74:75], s[36:37]
	v_mul_f64 v[144:145], v[72:73], s[36:37]
	v_fma_f64 v[114:115], v[94:95], s[28:29], v[102:103]
	v_add_f64 v[16:17], v[56:57], v[16:17]
	v_add_f64 v[8:9], v[58:59], v[8:9]
	v_fma_f64 v[22:23], v[92:93], s[28:29], v[22:23]
	v_fma_f64 v[102:103], v[94:95], s[28:29], -v[102:103]
	v_add_f64 v[12:13], v[126:127], v[12:13]
	v_add_f64 v[106:107], v[136:137], v[106:107]
	v_fma_f64 v[126:127], v[68:69], s[28:29], -v[142:143]
	v_fma_f64 v[136:137], v[70:71], s[28:29], v[144:145]
	v_mul_f64 v[146:147], v[82:83], s[40:41]
	v_add_f64 v[56:57], v[112:113], v[10:11]
	v_mul_f64 v[10:11], v[80:81], s[40:41]
	v_add_f64 v[58:59], v[114:115], v[20:21]
	v_add_f64 v[112:113], v[22:23], v[16:17]
	;; [unrolled: 1-line block ×5, first 2 shown]
	v_fma_f64 v[16:17], v[76:77], s[22:23], -v[146:147]
	v_fma_f64 v[20:21], v[60:61], s[6:7], v[108:109]
	v_fma_f64 v[22:23], v[62:63], s[6:7], -v[128:129]
	v_fma_f64 v[102:103], v[78:79], s[22:23], v[10:11]
	v_mul_f64 v[106:107], v[90:91], s[34:35]
	v_mul_f64 v[108:109], v[88:89], s[34:35]
	s_mov_b32 s25, 0x3fddbe06
	v_mul_f64 v[126:127], v[98:99], s[24:25]
	v_add_f64 v[8:9], v[16:17], v[8:9]
	v_add_f64 v[16:17], v[20:21], v[118:119]
	;; [unrolled: 1-line block ×3, first 2 shown]
	v_fma_f64 v[22:23], v[68:69], s[28:29], v[142:143]
	v_fma_f64 v[110:111], v[70:71], s[28:29], -v[144:145]
	v_add_f64 v[12:13], v[102:103], v[12:13]
	v_fma_f64 v[102:103], v[84:85], s[2:3], -v[106:107]
	v_fma_f64 v[118:119], v[86:87], s[2:3], v[108:109]
	v_mul_f64 v[128:129], v[96:97], s[24:25]
	v_fma_f64 v[10:11], v[78:79], s[22:23], -v[10:11]
	v_mul_f64 v[144:145], v[74:75], s[42:43]
	v_add_f64 v[16:17], v[22:23], v[16:17]
	v_add_f64 v[20:21], v[110:111], v[20:21]
	v_fma_f64 v[22:23], v[76:77], s[22:23], v[146:147]
	v_add_f64 v[8:9], v[102:103], v[8:9]
	v_mul_f64 v[102:103], v[66:67], s[36:37]
	v_mul_f64 v[110:111], v[64:65], s[36:37]
	v_add_f64 v[12:13], v[118:119], v[12:13]
	v_fma_f64 v[118:119], v[92:93], s[18:19], -v[126:127]
	v_fma_f64 v[136:137], v[94:95], s[18:19], v[128:129]
	v_add_f64 v[20:21], v[10:11], v[20:21]
	v_add_f64 v[16:17], v[22:23], v[16:17]
	v_fma_f64 v[22:23], v[84:85], s[2:3], v[106:107]
	v_fma_f64 v[106:107], v[86:87], s[2:3], -v[108:109]
	v_fma_f64 v[108:109], v[60:61], s[28:29], -v[102:103]
	v_fma_f64 v[142:143], v[62:63], s[28:29], v[110:111]
	v_mul_f64 v[146:147], v[72:73], s[42:43]
	v_add_f64 v[8:9], v[118:119], v[8:9]
	v_add_f64 v[10:11], v[136:137], v[12:13]
	v_mul_f64 v[118:119], v[80:81], s[24:25]
	v_add_f64 v[12:13], v[22:23], v[16:17]
	v_add_f64 v[16:17], v[106:107], v[20:21]
	;; [unrolled: 1-line block ×4, first 2 shown]
	v_fma_f64 v[22:23], v[68:69], s[6:7], -v[144:145]
	v_fma_f64 v[106:107], v[70:71], s[6:7], v[146:147]
	v_mul_f64 v[108:109], v[82:83], s[24:25]
	v_fma_f64 v[102:103], v[60:61], s[28:29], v[102:103]
	v_fma_f64 v[110:111], v[62:63], s[28:29], -v[110:111]
	v_fma_f64 v[120:121], v[92:93], s[18:19], v[126:127]
	v_fma_f64 v[126:127], v[94:95], s[18:19], -v[128:129]
	v_mul_f64 v[128:129], v[90:91], s[30:31]
	v_add_f64 v[14:15], v[22:23], v[14:15]
	v_add_f64 v[20:21], v[106:107], v[20:21]
	v_fma_f64 v[22:23], v[76:77], s[18:19], -v[108:109]
	v_fma_f64 v[106:107], v[78:79], s[18:19], v[118:119]
	v_mul_f64 v[136:137], v[88:89], s[30:31]
	v_add_f64 v[102:103], v[102:103], v[130:131]
	v_add_f64 v[104:105], v[110:111], v[104:105]
	v_fma_f64 v[110:111], v[68:69], s[6:7], v[144:145]
	v_fma_f64 v[130:131], v[70:71], s[6:7], -v[146:147]
	v_add_f64 v[12:13], v[120:121], v[12:13]
	v_add_f64 v[22:23], v[22:23], v[14:15]
	;; [unrolled: 1-line block ×3, first 2 shown]
	v_fma_f64 v[106:107], v[84:85], s[16:17], -v[128:129]
	v_fma_f64 v[142:143], v[86:87], s[16:17], v[136:137]
	v_add_f64 v[14:15], v[126:127], v[16:17]
	v_add_f64 v[16:17], v[110:111], v[102:103]
	;; [unrolled: 1-line block ×3, first 2 shown]
	v_fma_f64 v[104:105], v[76:77], s[18:19], v[108:109]
	v_fma_f64 v[108:109], v[78:79], s[18:19], -v[118:119]
	v_mul_f64 v[118:119], v[66:67], s[40:41]
	v_mul_f64 v[120:121], v[64:65], s[40:41]
	v_add_f64 v[22:23], v[106:107], v[22:23]
	v_add_f64 v[106:107], v[142:143], v[20:21]
	v_mul_f64 v[20:21], v[98:99], s[26:27]
	v_mul_f64 v[110:111], v[96:97], s[26:27]
	v_add_f64 v[16:17], v[104:105], v[16:17]
	v_add_f64 v[102:103], v[108:109], v[102:103]
	v_fma_f64 v[104:105], v[84:85], s[16:17], v[128:129]
	v_fma_f64 v[108:109], v[86:87], s[16:17], -v[136:137]
	v_fma_f64 v[130:131], v[60:61], s[22:23], -v[118:119]
	v_fma_f64 v[136:137], v[62:63], s[22:23], v[120:121]
	v_mul_f64 v[142:143], v[74:75], s[24:25]
	v_mul_f64 v[144:145], v[72:73], s[24:25]
	v_fma_f64 v[126:127], v[92:93], s[22:23], -v[20:21]
	v_fma_f64 v[128:129], v[94:95], s[22:23], v[110:111]
	v_add_f64 v[16:17], v[104:105], v[16:17]
	v_add_f64 v[102:103], v[108:109], v[102:103]
	v_fma_f64 v[104:105], v[92:93], s[22:23], v[20:21]
	v_fma_f64 v[108:109], v[94:95], s[22:23], -v[110:111]
	v_add_f64 v[110:111], v[130:131], v[100:101]
	v_add_f64 v[122:123], v[136:137], v[122:123]
	v_fma_f64 v[130:131], v[68:69], s[18:19], -v[142:143]
	v_fma_f64 v[136:137], v[70:71], s[18:19], v[144:145]
	v_mul_f64 v[146:147], v[82:83], s[38:39]
	s_mov_b32 s39, 0x3fcea1e5
	s_mov_b32 s38, s36
	v_add_f64 v[20:21], v[126:127], v[22:23]
	v_add_f64 v[22:23], v[128:129], v[106:107]
	;; [unrolled: 1-line block ×6, first 2 shown]
	v_fma_f64 v[106:107], v[76:77], s[2:3], -v[146:147]
	v_fma_f64 v[108:109], v[78:79], s[2:3], v[148:149]
	v_fma_f64 v[110:111], v[60:61], s[22:23], v[118:119]
	v_fma_f64 v[118:119], v[62:63], s[22:23], -v[120:121]
	v_mul_f64 v[120:121], v[90:91], s[38:39]
	v_mul_f64 v[122:123], v[88:89], s[38:39]
	s_mov_b32 s37, 0x3fea55e2
	s_mov_b32 s36, s30
	v_add_f64 v[16:17], v[106:107], v[16:17]
	v_add_f64 v[104:105], v[108:109], v[104:105]
	;; [unrolled: 1-line block ×4, first 2 shown]
	v_fma_f64 v[110:111], v[68:69], s[18:19], v[142:143]
	v_fma_f64 v[118:119], v[70:71], s[18:19], -v[144:145]
	v_fma_f64 v[126:127], v[84:85], s[28:29], -v[120:121]
	v_fma_f64 v[128:129], v[86:87], s[28:29], v[122:123]
	v_mul_f64 v[130:131], v[98:99], s[36:37]
	v_mul_f64 v[132:133], v[96:97], s[36:37]
	;; [unrolled: 1-line block ×4, first 2 shown]
	v_add_f64 v[106:107], v[110:111], v[106:107]
	v_add_f64 v[108:109], v[118:119], v[108:109]
	v_fma_f64 v[110:111], v[76:77], s[2:3], v[146:147]
	v_fma_f64 v[118:119], v[78:79], s[2:3], -v[148:149]
	v_add_f64 v[16:17], v[126:127], v[16:17]
	v_add_f64 v[126:127], v[128:129], v[104:105]
	v_fma_f64 v[104:105], v[92:93], s[16:17], -v[130:131]
	v_mul_f64 v[128:129], v[66:67], s[34:35]
	v_fma_f64 v[136:137], v[94:95], s[16:17], v[132:133]
	v_mul_f64 v[144:145], v[72:73], s[30:31]
	v_add_f64 v[110:111], v[110:111], v[106:107]
	v_add_f64 v[108:109], v[118:119], v[108:109]
	v_fma_f64 v[118:119], v[84:85], s[28:29], v[120:121]
	v_fma_f64 v[120:121], v[86:87], s[28:29], -v[122:123]
	v_add_f64 v[104:105], v[104:105], v[16:17]
	v_fma_f64 v[16:17], v[60:61], s[2:3], -v[128:129]
	v_fma_f64 v[122:123], v[62:63], s[2:3], v[134:135]
	v_add_f64 v[106:107], v[136:137], v[126:127]
	v_mul_f64 v[126:127], v[82:83], s[38:39]
	v_fma_f64 v[132:133], v[94:95], s[16:17], -v[132:133]
	v_add_f64 v[110:111], v[118:119], v[110:111]
	v_add_f64 v[118:119], v[120:121], v[108:109]
	v_fma_f64 v[108:109], v[92:93], s[16:17], v[130:131]
	v_add_f64 v[16:17], v[16:17], v[138:139]
	v_add_f64 v[120:121], v[122:123], v[124:125]
	v_fma_f64 v[122:123], v[68:69], s[16:17], -v[142:143]
	v_fma_f64 v[124:125], v[70:71], s[16:17], v[144:145]
	v_mul_f64 v[130:131], v[80:81], s[38:39]
	v_mul_f64 v[66:67], v[66:67], s[24:25]
	;; [unrolled: 1-line block ×3, first 2 shown]
	v_add_f64 v[108:109], v[108:109], v[110:111]
	v_fma_f64 v[110:111], v[60:61], s[2:3], v[128:129]
	v_fma_f64 v[128:129], v[62:63], s[2:3], -v[134:135]
	v_add_f64 v[16:17], v[122:123], v[16:17]
	v_fma_f64 v[122:123], v[76:77], s[28:29], -v[126:127]
	v_mul_f64 v[134:135], v[90:91], s[24:25]
	v_add_f64 v[120:121], v[124:125], v[120:121]
	v_fma_f64 v[124:125], v[78:79], s[28:29], v[130:131]
	v_mul_f64 v[72:73], v[72:73], s[26:27]
	v_add_f64 v[138:139], v[110:111], v[140:141]
	v_add_f64 v[116:117], v[128:129], v[116:117]
	v_fma_f64 v[128:129], v[68:69], s[16:17], v[142:143]
	v_add_f64 v[16:17], v[122:123], v[16:17]
	v_fma_f64 v[122:123], v[84:85], s[18:19], -v[134:135]
	v_mul_f64 v[142:143], v[98:99], s[20:21]
	v_add_f64 v[110:111], v[132:133], v[118:119]
	v_mul_f64 v[136:137], v[88:89], s[24:25]
	v_mul_f64 v[82:83], v[82:83], s[36:37]
	;; [unrolled: 1-line block ×3, first 2 shown]
	v_add_f64 v[118:119], v[128:129], v[138:139]
	v_fma_f64 v[128:129], v[78:79], s[28:29], -v[130:131]
	v_add_f64 v[16:17], v[122:123], v[16:17]
	v_fma_f64 v[122:123], v[92:93], s[6:7], -v[142:143]
	v_mul_f64 v[130:131], v[64:65], s[24:25]
	v_fma_f64 v[140:141], v[70:71], s[16:17], -v[144:145]
	v_add_f64 v[120:121], v[124:125], v[120:121]
	v_fma_f64 v[124:125], v[86:87], s[18:19], v[136:137]
	v_fma_f64 v[126:127], v[76:77], s[28:29], v[126:127]
	v_add_f64 v[64:65], v[122:123], v[16:17]
	v_fma_f64 v[122:123], v[60:61], s[18:19], -v[66:67]
	v_fma_f64 v[132:133], v[62:63], s[18:19], v[130:131]
	v_fma_f64 v[60:61], v[60:61], s[18:19], v[66:67]
	v_fma_f64 v[62:63], v[62:63], s[18:19], -v[130:131]
	v_fma_f64 v[66:67], v[68:69], s[22:23], -v[74:75]
	v_add_f64 v[116:117], v[140:141], v[116:117]
	v_add_f64 v[120:121], v[124:125], v[120:121]
	v_mul_f64 v[124:125], v[96:97], s[20:21]
	v_add_f64 v[0:1], v[122:123], v[0:1]
	v_add_f64 v[2:3], v[132:133], v[2:3]
	v_fma_f64 v[122:123], v[70:71], s[22:23], v[72:73]
	v_add_f64 v[4:5], v[60:61], v[4:5]
	v_add_f64 v[6:7], v[62:63], v[6:7]
	v_fma_f64 v[60:61], v[68:69], s[22:23], v[74:75]
	v_fma_f64 v[62:63], v[70:71], s[22:23], -v[72:73]
	v_fma_f64 v[68:69], v[78:79], s[16:17], v[80:81]
	v_add_f64 v[0:1], v[66:67], v[0:1]
	v_fma_f64 v[66:67], v[76:77], s[16:17], -v[82:83]
	v_add_f64 v[2:3], v[122:123], v[2:3]
	v_mul_f64 v[70:71], v[90:91], s[20:21]
	v_mul_f64 v[72:73], v[88:89], s[20:21]
	v_add_f64 v[4:5], v[60:61], v[4:5]
	v_add_f64 v[6:7], v[62:63], v[6:7]
	v_fma_f64 v[60:61], v[76:77], s[16:17], v[82:83]
	v_fma_f64 v[62:63], v[78:79], s[16:17], -v[80:81]
	v_add_f64 v[0:1], v[66:67], v[0:1]
	v_add_f64 v[2:3], v[68:69], v[2:3]
	v_fma_f64 v[66:67], v[84:85], s[6:7], -v[70:71]
	v_fma_f64 v[68:69], v[86:87], s[6:7], v[72:73]
	v_mul_f64 v[74:75], v[98:99], s[34:35]
	v_mul_f64 v[76:77], v[96:97], s[34:35]
	v_add_f64 v[4:5], v[60:61], v[4:5]
	v_add_f64 v[6:7], v[62:63], v[6:7]
	v_fma_f64 v[60:61], v[84:85], s[6:7], v[70:71]
	v_fma_f64 v[62:63], v[86:87], s[6:7], -v[72:73]
	v_add_f64 v[118:119], v[126:127], v[118:119]
	v_add_f64 v[116:117], v[128:129], v[116:117]
	v_fma_f64 v[126:127], v[84:85], s[18:19], v[134:135]
	v_fma_f64 v[128:129], v[86:87], s[18:19], -v[136:137]
	v_fma_f64 v[16:17], v[94:95], s[6:7], v[124:125]
	v_add_f64 v[78:79], v[66:67], v[0:1]
	v_add_f64 v[68:69], v[68:69], v[2:3]
	v_fma_f64 v[80:81], v[92:93], s[2:3], -v[74:75]
	v_fma_f64 v[82:83], v[94:95], s[2:3], v[76:77]
	v_add_f64 v[60:61], v[60:61], v[4:5]
	v_add_f64 v[62:63], v[62:63], v[6:7]
	v_fma_f64 v[74:75], v[92:93], s[2:3], v[74:75]
	v_fma_f64 v[76:77], v[94:95], s[2:3], -v[76:77]
	v_add_f64 v[118:119], v[126:127], v[118:119]
	v_add_f64 v[116:117], v[128:129], v[116:117]
	v_fma_f64 v[70:71], v[92:93], s[6:7], v[142:143]
	v_fma_f64 v[72:73], v[94:95], s[6:7], -v[124:125]
	v_add_f64 v[66:67], v[16:17], v[120:121]
	v_add_f64 v[4:5], v[80:81], v[78:79]
	;; [unrolled: 1-line block ×3, first 2 shown]
	v_mul_lo_u16_e32 v16, 13, v28
	v_add_f64 v[60:61], v[74:75], v[60:61]
	v_add_f64 v[62:63], v[76:77], v[62:63]
	v_lshl_add_u32 v255, v16, 4, v18
	v_add_f64 v[0:1], v[70:71], v[118:119]
	v_add_f64 v[2:3], v[72:73], v[116:117]
	ds_write_b128 v255, v[52:55]
	ds_write_b128 v255, v[56:59] offset:16
	ds_write_b128 v255, v[8:11] offset:32
	;; [unrolled: 1-line block ×12, first 2 shown]
	s_waitcnt vmcnt(0) lgkmcnt(0)
	s_barrier
	ds_read_b128 v[120:123], v19
	ds_read_b128 v[116:119], v19 offset:1248
	ds_read_b128 v[108:111], v19 offset:2704
	;; [unrolled: 1-line block ×11, first 2 shown]
	s_load_dwordx2 s[2:3], s[4:5], 0x38
                                        ; implicit-def: $vgpr88_vgpr89
                                        ; implicit-def: $vgpr128_vgpr129
                                        ; implicit-def: $vgpr132_vgpr133
                                        ; implicit-def: $vgpr136_vgpr137
                                        ; implicit-def: $vgpr124_vgpr125
	s_and_saveexec_b64 s[4:5], vcc
	s_cbranch_execz .LBB0_3
; %bb.2:
	ds_read_b128 v[112:115], v19 offset:2496
	ds_read_b128 v[88:91], v19 offset:5200
	;; [unrolled: 1-line block ×6, first 2 shown]
.LBB0_3:
	s_or_b64 exec, exec, s[4:5]
	s_movk_i32 s4, 0x4f
	v_mul_lo_u16_sdwa v0, v28, s4 dst_sel:DWORD dst_unused:UNUSED_PAD src0_sel:BYTE_0 src1_sel:DWORD
	v_lshrrev_b16_e32 v8, 10, v0
	v_mul_lo_u16_e32 v0, 13, v8
	v_sub_u16_e32 v0, v28, v0
	v_mov_b32_e32 v13, s14
	v_and_b32_e32 v9, 0xff, v0
	s_movk_i32 s5, 0x50
	v_mov_b32_e32 v14, s15
	v_mad_u64_u32 v[0:1], s[6:7], v9, s5, v[13:14]
	global_load_dwordx4 v[68:71], v[0:1], off offset:48
	global_load_dwordx4 v[72:75], v[0:1], off offset:32
	;; [unrolled: 1-line block ×3, first 2 shown]
	global_load_dwordx4 v[84:87], v[0:1], off
	v_add_u16_e32 v11, 0x4e, v28
	v_mul_lo_u16_sdwa v10, v11, s4 dst_sel:DWORD dst_unused:UNUSED_PAD src0_sel:BYTE_0 src1_sel:DWORD
	v_lshrrev_b16_e32 v10, 10, v10
	v_mul_lo_u16_e32 v12, 13, v10
	v_sub_u16_e32 v11, v11, v12
	v_and_b32_e32 v11, 0xff, v11
	v_mad_u64_u32 v[140:141], s[6:7], v11, s5, v[13:14]
	v_add_u16_e32 v12, 0x9c, v28
	v_mul_lo_u16_sdwa v24, v12, s4 dst_sel:DWORD dst_unused:UNUSED_PAD src0_sel:BYTE_0 src1_sel:DWORD
	v_lshrrev_b16_e32 v24, 10, v24
	v_mul_lo_u16_e32 v24, 13, v24
	v_sub_u16_e32 v12, v12, v24
	s_mov_b32 s6, 0xe8584caa
	s_mov_b32 s7, 0x3febb67a
	v_mul_u32_u24_e32 v8, 0x4e, v8
	v_add_u32_e32 v8, v8, v9
	s_waitcnt vmcnt(3) lgkmcnt(0)
	v_mul_f64 v[6:7], v[82:83], v[70:71]
	s_waitcnt vmcnt(1)
	v_mul_f64 v[4:5], v[106:107], v[78:79]
	s_waitcnt vmcnt(0)
	v_mul_f64 v[2:3], v[110:111], v[86:87]
	v_fma_f64 v[22:23], v[80:81], v[68:69], -v[6:7]
	v_mul_f64 v[6:7], v[80:81], v[70:71]
	v_fma_f64 v[17:18], v[104:105], v[76:77], -v[4:5]
	;; [unrolled: 2-line block ×3, first 2 shown]
	v_mul_f64 v[2:3], v[108:109], v[86:87]
	v_fma_f64 v[146:147], v[82:83], v[68:69], v[6:7]
	global_load_dwordx4 v[80:83], v[0:1], off offset:64
	v_fma_f64 v[20:21], v[106:107], v[76:77], v[4:5]
	v_mul_f64 v[4:5], v[102:103], v[74:75]
	v_fma_f64 v[2:3], v[110:111], v[84:85], v[2:3]
	v_fma_f64 v[144:145], v[100:101], v[72:73], -v[4:5]
	v_mul_f64 v[4:5], v[100:101], v[74:75]
	v_fma_f64 v[4:5], v[102:103], v[72:73], v[4:5]
	s_waitcnt vmcnt(0)
	v_mul_f64 v[0:1], v[98:99], v[82:83]
	v_mul_f64 v[6:7], v[96:97], v[82:83]
	v_fma_f64 v[0:1], v[96:97], v[80:81], -v[0:1]
	v_fma_f64 v[6:7], v[98:99], v[80:81], v[6:7]
	global_load_dwordx4 v[96:99], v[140:141], off offset:48
	global_load_dwordx4 v[100:103], v[140:141], off offset:32
	;; [unrolled: 1-line block ×3, first 2 shown]
	global_load_dwordx4 v[108:111], v[140:141], off
	s_waitcnt vmcnt(0)
	v_mul_f64 v[142:143], v[94:95], v[110:111]
	buffer_store_dword v12, off, s[48:51], 0 offset:144 ; 4-byte Folded Spill
	v_and_b32_e32 v12, 0xff, v12
	v_mad_u64_u32 v[13:14], s[4:5], v12, s5, v[13:14]
	s_mov_b32 s5, 0xbfebb67a
	s_mov_b32 s4, s6
	v_fma_f64 v[174:175], v[92:93], v[108:109], -v[142:143]
	v_mul_f64 v[92:93], v[92:93], v[110:111]
	v_fma_f64 v[164:165], v[94:95], v[108:109], v[92:93]
	v_mul_f64 v[92:93], v[66:67], v[106:107]
	v_fma_f64 v[176:177], v[64:65], v[104:105], -v[92:93]
	global_load_dwordx4 v[92:95], v[140:141], off offset:64
	v_mul_f64 v[64:65], v[64:65], v[106:107]
	v_fma_f64 v[178:179], v[66:67], v[104:105], v[64:65]
	v_mul_f64 v[64:65], v[62:63], v[102:103]
	v_fma_f64 v[166:167], v[60:61], v[100:101], -v[64:65]
	v_mul_f64 v[60:61], v[60:61], v[102:103]
	v_fma_f64 v[170:171], v[62:63], v[100:101], v[60:61]
	v_mul_f64 v[60:61], v[58:59], v[98:99]
	v_fma_f64 v[180:181], v[56:57], v[96:97], -v[60:61]
	v_mul_f64 v[56:57], v[56:57], v[98:99]
	v_fma_f64 v[182:183], v[58:59], v[96:97], v[56:57]
	s_waitcnt vmcnt(0)
	v_mul_f64 v[56:57], v[54:55], v[94:95]
	v_fma_f64 v[168:169], v[52:53], v[92:93], -v[56:57]
	v_mul_f64 v[52:53], v[52:53], v[94:95]
	v_fma_f64 v[172:173], v[54:55], v[92:93], v[52:53]
	global_load_dwordx4 v[52:55], v[13:14], off offset:48
	global_load_dwordx4 v[56:59], v[13:14], off offset:32
	;; [unrolled: 1-line block ×3, first 2 shown]
	global_load_dwordx4 v[64:67], v[13:14], off
	s_waitcnt vmcnt(0)
	v_mul_f64 v[140:141], v[90:91], v[66:67]
	v_fma_f64 v[150:151], v[88:89], v[64:65], -v[140:141]
	v_mul_f64 v[88:89], v[88:89], v[66:67]
	v_fma_f64 v[140:141], v[90:91], v[64:65], v[88:89]
	v_mul_f64 v[88:89], v[130:131], v[62:63]
	v_fma_f64 v[154:155], v[128:129], v[60:61], -v[88:89]
	v_mul_f64 v[88:89], v[128:129], v[62:63]
	v_fma_f64 v[156:157], v[130:131], v[60:61], v[88:89]
	;; [unrolled: 4-line block ×4, first 2 shown]
	global_load_dwordx4 v[88:91], v[13:14], off offset:64
	s_waitcnt vmcnt(0)
	s_barrier
	buffer_load_dword v9, off, s[48:51], 0  ; 4-byte Folded Reload
	v_mul_f64 v[13:14], v[126:127], v[90:91]
	v_fma_f64 v[152:153], v[124:125], v[88:89], -v[13:14]
	v_mul_f64 v[13:14], v[124:125], v[90:91]
	v_add_f64 v[124:125], v[17:18], v[22:23]
	v_fma_f64 v[162:163], v[126:127], v[88:89], v[13:14]
	v_add_f64 v[13:14], v[120:121], v[17:18]
	v_fma_f64 v[120:121], v[124:125], -0.5, v[120:121]
	v_add_f64 v[124:125], v[20:21], -v[146:147]
	v_add_f64 v[17:18], v[17:18], -v[22:23]
	v_add_f64 v[13:14], v[13:14], v[22:23]
	v_fma_f64 v[132:133], v[124:125], s[6:7], v[120:121]
	v_fma_f64 v[134:135], v[124:125], s[4:5], v[120:121]
	v_add_f64 v[120:121], v[122:123], v[20:21]
	v_add_f64 v[20:21], v[20:21], v[146:147]
	;; [unrolled: 1-line block ×3, first 2 shown]
	v_fma_f64 v[20:21], v[20:21], -0.5, v[122:123]
	v_add_f64 v[120:121], v[144:145], v[0:1]
	v_fma_f64 v[22:23], v[17:18], s[4:5], v[20:21]
	v_fma_f64 v[17:18], v[17:18], s[6:7], v[20:21]
	v_add_f64 v[20:21], v[15:16], v[144:145]
	v_fma_f64 v[15:16], v[120:121], -0.5, v[15:16]
	v_add_f64 v[120:121], v[4:5], -v[6:7]
	v_add_f64 v[20:21], v[20:21], v[0:1]
	v_add_f64 v[0:1], v[144:145], -v[0:1]
	v_fma_f64 v[126:127], v[120:121], s[6:7], v[15:16]
	v_fma_f64 v[15:16], v[120:121], s[4:5], v[15:16]
	v_add_f64 v[120:121], v[2:3], v[4:5]
	v_add_f64 v[4:5], v[4:5], v[6:7]
	v_add_f64 v[144:145], v[13:14], -v[20:21]
	v_add_f64 v[146:147], v[120:121], v[6:7]
	v_fma_f64 v[2:3], v[4:5], -0.5, v[2:3]
	v_mul_f64 v[6:7], v[15:16], -0.5
	v_add_f64 v[120:121], v[13:14], v[20:21]
	v_add_f64 v[13:14], v[178:179], v[182:183]
	;; [unrolled: 1-line block ×3, first 2 shown]
	v_fma_f64 v[4:5], v[0:1], s[4:5], v[2:3]
	v_fma_f64 v[0:1], v[0:1], s[6:7], v[2:3]
	v_add_f64 v[146:147], v[138:139], -v[146:147]
	v_fma_f64 v[13:14], v[13:14], -0.5, v[118:119]
	v_mul_f64 v[2:3], v[4:5], s[6:7]
	v_fma_f64 v[6:7], v[0:1], s[6:7], v[6:7]
	v_mul_f64 v[0:1], v[0:1], -0.5
	v_fma_f64 v[2:3], v[126:127], 0.5, v[2:3]
	v_mul_f64 v[126:127], v[126:127], s[4:5]
	v_fma_f64 v[0:1], v[15:16], s[4:5], v[0:1]
	v_add_f64 v[15:16], v[176:177], -v[180:181]
	v_add_f64 v[128:129], v[134:135], v[6:7]
	v_add_f64 v[124:125], v[132:133], v[2:3]
	v_fma_f64 v[4:5], v[4:5], 0.5, v[126:127]
	v_add_f64 v[130:131], v[17:18], v[0:1]
	v_add_f64 v[136:137], v[132:133], -v[2:3]
	v_add_f64 v[132:133], v[134:135], -v[6:7]
	;; [unrolled: 1-line block ×3, first 2 shown]
	v_fma_f64 v[17:18], v[15:16], s[4:5], v[13:14]
	v_fma_f64 v[20:21], v[15:16], s[6:7], v[13:14]
	v_add_f64 v[13:14], v[174:175], v[166:167]
	v_add_f64 v[126:127], v[22:23], v[4:5]
	v_add_f64 v[138:139], v[22:23], -v[4:5]
	v_add_f64 v[2:3], v[176:177], v[180:181]
	v_add_f64 v[4:5], v[178:179], -v[182:183]
	v_add_f64 v[15:16], v[170:171], -v[172:173]
	v_add_f64 v[0:1], v[116:117], v[176:177]
	v_add_f64 v[22:23], v[13:14], v[168:169]
	;; [unrolled: 1-line block ×3, first 2 shown]
	v_fma_f64 v[2:3], v[2:3], -0.5, v[116:117]
	v_add_f64 v[0:1], v[0:1], v[180:181]
	v_fma_f64 v[13:14], v[13:14], -0.5, v[174:175]
	v_fma_f64 v[6:7], v[4:5], s[6:7], v[2:3]
	v_fma_f64 v[2:3], v[4:5], s[4:5], v[2:3]
	v_add_f64 v[4:5], v[118:119], v[178:179]
	v_fma_f64 v[116:117], v[15:16], s[6:7], v[13:14]
	v_fma_f64 v[118:119], v[15:16], s[4:5], v[13:14]
	v_add_f64 v[13:14], v[164:165], v[170:171]
	v_add_f64 v[15:16], v[166:167], -v[168:169]
	v_add_f64 v[4:5], v[4:5], v[182:183]
	v_add_f64 v[174:175], v[13:14], v[172:173]
	;; [unrolled: 1-line block ×3, first 2 shown]
	v_add_f64 v[172:173], v[0:1], -v[22:23]
	v_fma_f64 v[13:14], v[13:14], -0.5, v[164:165]
	v_fma_f64 v[166:167], v[15:16], s[4:5], v[13:14]
	v_fma_f64 v[170:171], v[15:16], s[6:7], v[13:14]
	v_add_f64 v[13:14], v[0:1], v[22:23]
	v_add_f64 v[0:1], v[112:113], v[154:155]
	v_mul_f64 v[15:16], v[166:167], s[6:7]
	v_add_f64 v[0:1], v[0:1], v[158:159]
	v_fma_f64 v[176:177], v[116:117], 0.5, v[15:16]
	v_mul_f64 v[15:16], v[118:119], -0.5
	v_mul_f64 v[116:117], v[116:117], s[4:5]
	v_add_f64 v[164:165], v[6:7], v[176:177]
	v_fma_f64 v[178:179], v[170:171], s[6:7], v[15:16]
	v_mul_f64 v[170:171], v[170:171], -0.5
	v_add_f64 v[15:16], v[4:5], v[174:175]
	v_fma_f64 v[116:117], v[166:167], 0.5, v[116:117]
	v_add_f64 v[174:175], v[4:5], -v[174:175]
	v_add_f64 v[4:5], v[156:157], -v[160:161]
	;; [unrolled: 1-line block ×4, first 2 shown]
	v_add_f64 v[168:169], v[2:3], v[178:179]
	v_add_f64 v[180:181], v[2:3], -v[178:179]
	v_add_f64 v[2:3], v[154:155], v[158:159]
	v_fma_f64 v[118:119], v[118:119], s[4:5], v[170:171]
	v_add_f64 v[166:167], v[17:18], v[116:117]
	v_add_f64 v[178:179], v[17:18], -v[116:117]
	v_add_f64 v[116:117], v[142:143], -v[152:153]
	v_fma_f64 v[2:3], v[2:3], -0.5, v[112:113]
	v_add_f64 v[170:171], v[20:21], v[118:119]
	v_add_f64 v[182:183], v[20:21], -v[118:119]
	v_add_f64 v[112:113], v[148:149], -v[162:163]
	v_fma_f64 v[17:18], v[4:5], s[6:7], v[2:3]
	v_fma_f64 v[20:21], v[4:5], s[4:5], v[2:3]
	v_add_f64 v[4:5], v[156:157], v[160:161]
	v_add_f64 v[2:3], v[114:115], v[156:157]
	v_fma_f64 v[4:5], v[4:5], -0.5, v[114:115]
	v_add_f64 v[2:3], v[2:3], v[160:161]
	v_fma_f64 v[22:23], v[6:7], s[4:5], v[4:5]
	v_fma_f64 v[154:155], v[6:7], s[6:7], v[4:5]
	v_add_f64 v[6:7], v[142:143], v[152:153]
	v_add_f64 v[4:5], v[150:151], v[142:143]
	v_fma_f64 v[6:7], v[6:7], -0.5, v[150:151]
	v_add_f64 v[4:5], v[4:5], v[152:153]
	;; [unrolled: 6-line block ×3, first 2 shown]
	v_fma_f64 v[140:141], v[116:117], s[4:5], v[112:113]
	v_fma_f64 v[142:143], v[116:117], s[6:7], v[112:113]
	v_mul_f64 v[116:117], v[118:119], -0.5
	v_mul_f64 v[112:113], v[140:141], s[6:7]
	v_fma_f64 v[150:151], v[142:143], s[6:7], v[116:117]
	v_fma_f64 v[148:149], v[114:115], 0.5, v[112:113]
	v_mul_f64 v[114:115], v[114:115], s[4:5]
	v_add_f64 v[116:117], v[20:21], v[150:151]
	v_add_f64 v[152:153], v[20:21], -v[150:151]
	v_add_f64 v[112:113], v[17:18], v[148:149]
	v_fma_f64 v[156:157], v[140:141], 0.5, v[114:115]
	v_mul_f64 v[140:141], v[142:143], -0.5
	v_add_f64 v[148:149], v[17:18], -v[148:149]
	v_add_f64 v[142:143], v[2:3], -v[6:7]
	s_waitcnt vmcnt(0)
	v_lshl_add_u32 v18, v8, 4, v9
	v_mul_u32_u24_e32 v8, 0x4e, v10
	v_add_u32_e32 v8, v8, v11
	v_lshl_add_u32 v20, v8, 4, v9
	v_add_f64 v[114:115], v[22:23], v[156:157]
	v_fma_f64 v[158:159], v[118:119], s[4:5], v[140:141]
	v_add_f64 v[140:141], v[0:1], -v[4:5]
	v_add_f64 v[150:151], v[22:23], -v[156:157]
	ds_write_b128 v18, v[120:123]
	ds_write_b128 v18, v[124:127] offset:208
	ds_write_b128 v18, v[128:131] offset:416
	ds_write_b128 v18, v[144:147] offset:624
	ds_write_b128 v18, v[136:139] offset:832
	ds_write_b128 v18, v[132:135] offset:1040
	ds_write_b128 v20, v[13:16]
	ds_write_b128 v20, v[164:167] offset:208
	ds_write_b128 v20, v[168:171] offset:416
	;; [unrolled: 1-line block ×5, first 2 shown]
	v_add_f64 v[118:119], v[154:155], v[158:159]
	v_add_f64 v[154:155], v[154:155], -v[158:159]
	s_and_saveexec_b64 s[4:5], vcc
	s_cbranch_execz .LBB0_5
; %bb.4:
	v_add_f64 v[0:1], v[0:1], v[4:5]
	buffer_load_dword v4, off, s[48:51], 0  ; 4-byte Folded Reload
	v_add_f64 v[2:3], v[2:3], v[6:7]
	s_waitcnt vmcnt(0)
	v_lshl_add_u32 v4, v12, 4, v4
	ds_write_b128 v4, v[112:115] offset:15184
	ds_write_b128 v4, v[116:119] offset:15392
	;; [unrolled: 1-line block ×6, first 2 shown]
.LBB0_5:
	s_or_b64 exec, exec, s[4:5]
	v_mov_b32_e32 v0, s13
	v_addc_co_u32_e64 v21, s[0:1], 0, v0, s[0:1]
	v_mov_b32_e32 v17, s15
	s_movk_i32 s0, 0xc0
	v_mov_b32_e32 v16, s14
	v_mad_u64_u32 v[16:17], s[0:1], v28, s0, v[16:17]
	s_waitcnt lgkmcnt(0)
	s_barrier
	ds_read_b128 v[184:187], v19
	ds_read_b128 v[0:3], v19 offset:1248
	ds_read_b128 v[4:7], v19 offset:2496
	;; [unrolled: 1-line block ×12, first 2 shown]
	buffer_store_dword v28, off, s[48:51], 0 offset:12 ; 4-byte Folded Spill
	global_load_dwordx4 v[128:131], v[16:17], off offset:1088
	global_load_dwordx4 v[132:135], v[16:17], off offset:1072
	;; [unrolled: 1-line block ×8, first 2 shown]
	s_mov_b32 s4, 0x66966769
	s_mov_b32 s5, 0xbfefc445
	;; [unrolled: 1-line block ×35, first 2 shown]
	s_movk_i32 s0, 0x3f60
	s_waitcnt vmcnt(4) lgkmcnt(11)
	v_mul_f64 v[22:23], v[2:3], v[162:163]
	v_fma_f64 v[22:23], v[0:1], v[160:161], -v[22:23]
	v_mul_f64 v[0:1], v[0:1], v[162:163]
	v_fma_f64 v[0:1], v[2:3], v[160:161], v[0:1]
	s_waitcnt lgkmcnt(10)
	v_mul_f64 v[2:3], v[6:7], v[146:147]
	v_fma_f64 v[220:221], v[4:5], v[144:145], -v[2:3]
	v_mul_f64 v[2:3], v[4:5], v[146:147]
	v_fma_f64 v[222:223], v[6:7], v[144:145], v[2:3]
	s_waitcnt lgkmcnt(9)
	v_mul_f64 v[2:3], v[10:11], v[134:135]
	v_add_f64 v[6:7], v[184:185], v[22:23]
	v_fma_f64 v[214:215], v[8:9], v[132:133], -v[2:3]
	v_mul_f64 v[2:3], v[8:9], v[134:135]
	v_add_f64 v[6:7], v[6:7], v[220:221]
	v_add_f64 v[8:9], v[186:187], v[0:1]
	v_fma_f64 v[212:213], v[10:11], v[132:133], v[2:3]
	s_waitcnt lgkmcnt(8)
	v_mul_f64 v[2:3], v[14:15], v[130:131]
	v_add_f64 v[6:7], v[6:7], v[214:215]
	v_add_f64 v[8:9], v[8:9], v[222:223]
	v_fma_f64 v[206:207], v[12:13], v[128:129], -v[2:3]
	v_mul_f64 v[2:3], v[12:13], v[130:131]
	v_add_f64 v[8:9], v[8:9], v[212:213]
	v_add_f64 v[6:7], v[6:7], v[206:207]
	v_fma_f64 v[204:205], v[14:15], v[128:129], v[2:3]
	s_waitcnt vmcnt(0) lgkmcnt(7)
	v_mul_f64 v[2:3], v[158:159], v[174:175]
	v_add_f64 v[8:9], v[8:9], v[204:205]
	v_fma_f64 v[200:201], v[156:157], v[172:173], -v[2:3]
	v_mul_f64 v[2:3], v[156:157], v[174:175]
	v_add_f64 v[6:7], v[6:7], v[200:201]
	v_fma_f64 v[196:197], v[158:159], v[172:173], v[2:3]
	s_waitcnt lgkmcnt(6)
	v_mul_f64 v[2:3], v[166:167], v[138:139]
	v_add_f64 v[8:9], v[8:9], v[196:197]
	v_fma_f64 v[192:193], v[164:165], v[136:137], -v[2:3]
	v_mul_f64 v[2:3], v[164:165], v[138:139]
	v_add_f64 v[6:7], v[6:7], v[192:193]
	v_fma_f64 v[188:189], v[166:167], v[136:137], v[2:3]
	s_waitcnt lgkmcnt(5)
	;; [unrolled: 7-line block ×3, first 2 shown]
	v_mul_f64 v[2:3], v[178:179], v[122:123]
	v_add_f64 v[8:9], v[8:9], v[190:191]
	v_fma_f64 v[202:203], v[176:177], v[120:121], -v[2:3]
	v_mul_f64 v[2:3], v[176:177], v[122:123]
	v_add_f64 v[6:7], v[6:7], v[202:203]
	v_fma_f64 v[198:199], v[178:179], v[120:121], v[2:3]
	global_load_dwordx4 v[168:171], v[16:17], off offset:1216
	global_load_dwordx4 v[156:159], v[16:17], off offset:1200
	;; [unrolled: 1-line block ×4, first 2 shown]
	v_add_f64 v[8:9], v[8:9], v[198:199]
	s_waitcnt vmcnt(3) lgkmcnt(0)
	v_mul_f64 v[4:5], v[233:234], v[170:171]
	s_waitcnt vmcnt(0)
	v_mul_f64 v[2:3], v[182:183], v[178:179]
	v_fma_f64 v[4:5], v[235:236], v[168:169], v[4:5]
	v_fma_f64 v[210:211], v[180:181], v[176:177], -v[2:3]
	v_mul_f64 v[2:3], v[180:181], v[178:179]
	v_add_f64 v[26:27], v[0:1], v[4:5]
	v_add_f64 v[0:1], v[0:1], -v[4:5]
	v_add_f64 v[6:7], v[6:7], v[210:211]
	v_fma_f64 v[208:209], v[182:183], v[176:177], v[2:3]
	v_mul_f64 v[2:3], v[226:227], v[166:167]
	v_mul_f64 v[12:13], v[0:1], s[4:5]
	v_add_f64 v[8:9], v[8:9], v[208:209]
	v_fma_f64 v[218:219], v[224:225], v[164:165], -v[2:3]
	v_mul_f64 v[2:3], v[224:225], v[166:167]
	v_add_f64 v[6:7], v[6:7], v[218:219]
	v_fma_f64 v[216:217], v[226:227], v[164:165], v[2:3]
	v_mul_f64 v[2:3], v[230:231], v[158:159]
	v_add_f64 v[8:9], v[8:9], v[216:217]
	v_fma_f64 v[237:238], v[228:229], v[156:157], -v[2:3]
	v_mul_f64 v[2:3], v[228:229], v[158:159]
	v_add_f64 v[6:7], v[6:7], v[237:238]
	v_fma_f64 v[239:240], v[230:231], v[156:157], v[2:3]
	v_mul_f64 v[2:3], v[235:236], v[170:171]
	v_add_f64 v[8:9], v[8:9], v[239:240]
	v_fma_f64 v[2:3], v[233:234], v[168:169], -v[2:3]
	v_add_f64 v[182:183], v[8:9], v[4:5]
	v_add_f64 v[180:181], v[6:7], v[2:3]
	;; [unrolled: 1-line block ×3, first 2 shown]
	v_add_f64 v[2:3], v[22:23], -v[2:3]
	v_mul_f64 v[4:5], v[0:1], s[20:21]
	v_fma_f64 v[14:15], v[24:25], s[6:7], -v[12:13]
	v_mul_f64 v[22:23], v[2:3], s[4:5]
	v_fma_f64 v[12:13], v[24:25], s[6:7], v[12:13]
	v_fma_f64 v[6:7], v[24:25], s[22:23], -v[4:5]
	v_mul_f64 v[228:229], v[2:3], s[24:25]
	v_fma_f64 v[4:5], v[24:25], s[22:23], v[4:5]
	v_mul_f64 v[28:29], v[2:3], s[28:29]
	v_add_f64 v[14:15], v[184:185], v[14:15]
	v_fma_f64 v[224:225], v[26:27], s[6:7], v[22:23]
	v_add_f64 v[233:234], v[184:185], v[12:13]
	v_fma_f64 v[12:13], v[26:27], s[6:7], -v[22:23]
	v_add_f64 v[16:17], v[184:185], v[6:7]
	v_mul_f64 v[6:7], v[2:3], s[20:21]
	v_add_f64 v[249:250], v[184:185], v[4:5]
	v_add_f64 v[230:231], v[186:187], v[224:225]
	;; [unrolled: 1-line block ×3, first 2 shown]
	v_mul_f64 v[12:13], v[0:1], s[16:17]
	v_fma_f64 v[8:9], v[26:27], s[22:23], v[6:7]
	v_fma_f64 v[4:5], v[26:27], s[22:23], -v[6:7]
	v_mul_f64 v[6:7], v[0:1], s[14:15]
	v_fma_f64 v[22:23], v[24:25], s[18:19], -v[12:13]
	v_fma_f64 v[12:13], v[24:25], s[18:19], v[12:13]
	v_add_f64 v[247:248], v[186:187], v[8:9]
	v_add_f64 v[251:252], v[186:187], v[4:5]
	v_fma_f64 v[4:5], v[24:25], s[12:13], -v[6:7]
	v_mul_f64 v[8:9], v[2:3], s[14:15]
	v_fma_f64 v[6:7], v[24:25], s[12:13], v[6:7]
	v_add_f64 v[253:254], v[184:185], v[22:23]
	v_mul_f64 v[22:23], v[2:3], s[16:17]
	v_add_f64 v[243:244], v[184:185], v[12:13]
	v_fma_f64 v[2:3], v[26:27], s[30:31], v[28:29]
	v_add_f64 v[10:11], v[184:185], v[4:5]
	v_fma_f64 v[4:5], v[26:27], s[12:13], v[8:9]
	v_add_f64 v[6:7], v[184:185], v[6:7]
	v_fma_f64 v[8:9], v[26:27], s[12:13], -v[8:9]
	v_fma_f64 v[224:225], v[26:27], s[18:19], v[22:23]
	v_fma_f64 v[12:13], v[26:27], s[18:19], -v[22:23]
	v_mul_f64 v[22:23], v[0:1], s[24:25]
	v_add_f64 v[2:3], v[186:187], v[2:3]
	v_add_f64 v[4:5], v[186:187], v[4:5]
	v_add_f64 v[8:9], v[186:187], v[8:9]
	v_add_f64 v[241:242], v[186:187], v[224:225]
	v_add_f64 v[245:246], v[186:187], v[12:13]
	v_fma_f64 v[12:13], v[24:25], s[26:27], -v[22:23]
	v_fma_f64 v[22:23], v[24:25], s[26:27], v[22:23]
	v_fma_f64 v[224:225], v[26:27], s[26:27], v[228:229]
	v_add_f64 v[12:13], v[184:185], v[12:13]
	v_add_f64 v[226:227], v[184:185], v[22:23]
	v_fma_f64 v[22:23], v[26:27], s[26:27], -v[228:229]
	v_add_f64 v[224:225], v[186:187], v[224:225]
	v_add_f64 v[228:229], v[186:187], v[22:23]
	v_mul_f64 v[22:23], v[0:1], s[28:29]
	v_fma_f64 v[0:1], v[24:25], s[30:31], -v[22:23]
	v_fma_f64 v[22:23], v[24:25], s[30:31], v[22:23]
	v_add_f64 v[24:25], v[222:223], v[239:240]
	v_add_f64 v[0:1], v[184:185], v[0:1]
	;; [unrolled: 1-line block ×3, first 2 shown]
	v_fma_f64 v[22:23], v[26:27], s[30:31], -v[28:29]
	v_add_f64 v[28:29], v[222:223], -v[239:240]
	v_add_f64 v[26:27], v[220:221], -v[237:238]
	v_add_f64 v[186:187], v[186:187], v[22:23]
	v_add_f64 v[22:23], v[220:221], v[237:238]
	v_mul_f64 v[237:238], v[28:29], s[16:17]
	v_mul_f64 v[30:31], v[28:29], s[14:15]
	v_fma_f64 v[239:240], v[22:23], s[18:19], -v[237:238]
	v_fma_f64 v[220:221], v[22:23], s[12:13], -v[30:31]
	v_fma_f64 v[237:238], v[22:23], s[18:19], v[237:238]
	v_fma_f64 v[30:31], v[22:23], s[12:13], v[30:31]
	v_add_f64 v[10:11], v[239:240], v[10:11]
	v_mul_f64 v[239:240], v[26:27], s[16:17]
	v_add_f64 v[220:221], v[220:221], v[16:17]
	v_mul_f64 v[16:17], v[26:27], s[14:15]
	v_add_f64 v[6:7], v[237:238], v[6:7]
	v_add_f64 v[30:31], v[30:31], v[249:250]
	v_fma_f64 v[237:238], v[24:25], s[18:19], -v[239:240]
	v_fma_f64 v[222:223], v[24:25], s[12:13], v[16:17]
	v_fma_f64 v[16:17], v[24:25], s[12:13], -v[16:17]
	v_add_f64 v[8:9], v[237:238], v[8:9]
	v_mul_f64 v[237:238], v[28:29], s[28:29]
	v_add_f64 v[222:223], v[222:223], v[247:248]
	v_fma_f64 v[247:248], v[24:25], s[18:19], v[239:240]
	v_add_f64 v[16:17], v[16:17], v[251:252]
	v_fma_f64 v[239:240], v[22:23], s[30:31], -v[237:238]
	v_fma_f64 v[237:238], v[22:23], s[30:31], v[237:238]
	v_add_f64 v[4:5], v[247:248], v[4:5]
	v_add_f64 v[14:15], v[239:240], v[14:15]
	v_mul_f64 v[239:240], v[26:27], s[28:29]
	v_add_f64 v[233:234], v[237:238], v[233:234]
	v_fma_f64 v[237:238], v[24:25], s[30:31], -v[239:240]
	v_fma_f64 v[247:248], v[24:25], s[30:31], v[239:240]
	v_add_f64 v[235:236], v[237:238], v[235:236]
	v_mul_f64 v[237:238], v[28:29], s[36:37]
	v_add_f64 v[230:231], v[247:248], v[230:231]
	v_mul_f64 v[247:248], v[26:27], s[36:37]
	v_fma_f64 v[239:240], v[22:23], s[26:27], -v[237:238]
	v_fma_f64 v[237:238], v[22:23], s[26:27], v[237:238]
	v_fma_f64 v[249:250], v[24:25], s[26:27], v[247:248]
	v_add_f64 v[239:240], v[239:240], v[253:254]
	v_add_f64 v[237:238], v[237:238], v[243:244]
	v_fma_f64 v[243:244], v[24:25], s[26:27], -v[247:248]
	v_add_f64 v[241:242], v[249:250], v[241:242]
	v_add_f64 v[243:244], v[243:244], v[245:246]
	v_mul_f64 v[245:246], v[28:29], s[34:35]
	v_mul_f64 v[28:29], v[28:29], s[38:39]
	v_fma_f64 v[247:248], v[22:23], s[6:7], -v[245:246]
	v_fma_f64 v[245:246], v[22:23], s[6:7], v[245:246]
	v_add_f64 v[12:13], v[247:248], v[12:13]
	v_mul_f64 v[247:248], v[26:27], s[34:35]
	v_add_f64 v[226:227], v[245:246], v[226:227]
	v_mul_f64 v[26:27], v[26:27], s[38:39]
	v_fma_f64 v[245:246], v[24:25], s[6:7], -v[247:248]
	v_fma_f64 v[249:250], v[24:25], s[6:7], v[247:248]
	v_add_f64 v[228:229], v[245:246], v[228:229]
	v_fma_f64 v[245:246], v[22:23], s[22:23], -v[28:29]
	v_fma_f64 v[22:23], v[22:23], s[22:23], v[28:29]
	v_add_f64 v[28:29], v[212:213], v[216:217]
	v_add_f64 v[224:225], v[249:250], v[224:225]
	;; [unrolled: 1-line block ×3, first 2 shown]
	v_fma_f64 v[245:246], v[24:25], s[22:23], v[26:27]
	v_fma_f64 v[24:25], v[24:25], s[22:23], -v[26:27]
	v_add_f64 v[22:23], v[22:23], v[184:185]
	v_add_f64 v[26:27], v[214:215], v[218:219]
	v_add_f64 v[184:185], v[214:215], -v[218:219]
	v_add_f64 v[2:3], v[245:246], v[2:3]
	v_add_f64 v[24:25], v[24:25], v[186:187]
	v_add_f64 v[186:187], v[212:213], -v[216:217]
	v_mul_f64 v[216:217], v[184:185], s[4:5]
	v_mul_f64 v[212:213], v[186:187], s[4:5]
	v_fma_f64 v[218:219], v[28:29], s[6:7], v[216:217]
	v_fma_f64 v[214:215], v[26:27], s[6:7], -v[212:213]
	v_fma_f64 v[212:213], v[26:27], s[6:7], v[212:213]
	v_add_f64 v[218:219], v[218:219], v[222:223]
	v_mul_f64 v[222:223], v[186:187], s[38:39]
	v_add_f64 v[214:215], v[214:215], v[220:221]
	v_add_f64 v[30:31], v[212:213], v[30:31]
	v_fma_f64 v[212:213], v[28:29], s[6:7], -v[216:217]
	v_add_f64 v[16:17], v[212:213], v[16:17]
	v_mul_f64 v[212:213], v[186:187], s[28:29]
	v_fma_f64 v[216:217], v[26:27], s[30:31], -v[212:213]
	v_fma_f64 v[212:213], v[26:27], s[30:31], v[212:213]
	v_add_f64 v[10:11], v[216:217], v[10:11]
	v_mul_f64 v[216:217], v[184:185], s[28:29]
	v_add_f64 v[6:7], v[212:213], v[6:7]
	v_fma_f64 v[212:213], v[28:29], s[30:31], -v[216:217]
	v_fma_f64 v[220:221], v[28:29], s[30:31], v[216:217]
	v_add_f64 v[8:9], v[212:213], v[8:9]
	v_mul_f64 v[212:213], v[186:187], s[40:41]
	v_add_f64 v[4:5], v[220:221], v[4:5]
	;; [unrolled: 5-line block ×3, first 2 shown]
	v_mul_f64 v[233:234], v[184:185], s[38:39]
	v_fma_f64 v[220:221], v[28:29], s[18:19], v[216:217]
	v_fma_f64 v[216:217], v[28:29], s[18:19], -v[216:217]
	v_add_f64 v[220:221], v[220:221], v[230:231]
	v_fma_f64 v[230:231], v[26:27], s[22:23], -v[222:223]
	v_fma_f64 v[222:223], v[26:27], s[22:23], v[222:223]
	v_add_f64 v[216:217], v[216:217], v[235:236]
	v_fma_f64 v[235:236], v[28:29], s[22:23], v[233:234]
	v_fma_f64 v[233:234], v[28:29], s[22:23], -v[233:234]
	v_add_f64 v[230:231], v[230:231], v[239:240]
	v_add_f64 v[222:223], v[222:223], v[237:238]
	v_mul_f64 v[237:238], v[186:187], s[14:15]
	v_mul_f64 v[186:187], v[186:187], s[24:25]
	v_add_f64 v[235:236], v[235:236], v[241:242]
	v_add_f64 v[233:234], v[233:234], v[243:244]
	v_fma_f64 v[239:240], v[26:27], s[12:13], -v[237:238]
	v_fma_f64 v[237:238], v[26:27], s[12:13], v[237:238]
	v_add_f64 v[12:13], v[239:240], v[12:13]
	v_mul_f64 v[239:240], v[184:185], s[14:15]
	v_add_f64 v[226:227], v[237:238], v[226:227]
	v_mul_f64 v[184:185], v[184:185], s[24:25]
	v_fma_f64 v[237:238], v[28:29], s[12:13], -v[239:240]
	v_fma_f64 v[241:242], v[28:29], s[12:13], v[239:240]
	v_add_f64 v[228:229], v[237:238], v[228:229]
	v_fma_f64 v[237:238], v[26:27], s[26:27], -v[186:187]
	v_fma_f64 v[26:27], v[26:27], s[26:27], v[186:187]
	v_add_f64 v[186:187], v[204:205], -v[208:209]
	v_add_f64 v[224:225], v[241:242], v[224:225]
	v_add_f64 v[0:1], v[237:238], v[0:1]
	;; [unrolled: 1-line block ×3, first 2 shown]
	v_fma_f64 v[26:27], v[28:29], s[26:27], -v[184:185]
	v_fma_f64 v[237:238], v[28:29], s[26:27], v[184:185]
	v_add_f64 v[28:29], v[204:205], v[208:209]
	v_add_f64 v[184:185], v[206:207], -v[210:211]
	v_mul_f64 v[204:205], v[186:187], s[16:17]
	v_add_f64 v[24:25], v[26:27], v[24:25]
	v_add_f64 v[26:27], v[206:207], v[210:211]
	;; [unrolled: 1-line block ×3, first 2 shown]
	v_mul_f64 v[208:209], v[184:185], s[16:17]
	v_add_f64 v[237:238], v[188:189], -v[190:191]
	v_fma_f64 v[206:207], v[26:27], s[18:19], -v[204:205]
	v_fma_f64 v[204:205], v[26:27], s[18:19], v[204:205]
	v_fma_f64 v[210:211], v[28:29], s[18:19], v[208:209]
	v_add_f64 v[206:207], v[206:207], v[214:215]
	v_add_f64 v[30:31], v[204:205], v[30:31]
	v_fma_f64 v[204:205], v[28:29], s[18:19], -v[208:209]
	v_add_f64 v[210:211], v[210:211], v[218:219]
	v_mul_f64 v[218:219], v[184:185], s[4:5]
	v_add_f64 v[16:17], v[204:205], v[16:17]
	v_mul_f64 v[204:205], v[186:187], s[36:37]
	v_fma_f64 v[208:209], v[26:27], s[26:27], -v[204:205]
	v_fma_f64 v[204:205], v[26:27], s[26:27], v[204:205]
	v_add_f64 v[10:11], v[208:209], v[10:11]
	v_mul_f64 v[208:209], v[184:185], s[36:37]
	v_add_f64 v[6:7], v[204:205], v[6:7]
	v_fma_f64 v[204:205], v[28:29], s[26:27], -v[208:209]
	v_fma_f64 v[214:215], v[28:29], s[26:27], v[208:209]
	v_add_f64 v[8:9], v[204:205], v[8:9]
	v_mul_f64 v[204:205], v[186:187], s[38:39]
	v_add_f64 v[4:5], v[214:215], v[4:5]
	;; [unrolled: 5-line block ×3, first 2 shown]
	v_mul_f64 v[212:213], v[186:187], s[4:5]
	v_fma_f64 v[214:215], v[28:29], s[22:23], v[208:209]
	v_fma_f64 v[208:209], v[28:29], s[22:23], -v[208:209]
	v_add_f64 v[214:215], v[214:215], v[220:221]
	v_add_f64 v[208:209], v[208:209], v[216:217]
	v_fma_f64 v[216:217], v[26:27], s[6:7], -v[212:213]
	v_fma_f64 v[212:213], v[26:27], s[6:7], v[212:213]
	v_fma_f64 v[220:221], v[28:29], s[6:7], v[218:219]
	v_fma_f64 v[218:219], v[28:29], s[6:7], -v[218:219]
	v_add_f64 v[216:217], v[216:217], v[230:231]
	v_add_f64 v[212:213], v[212:213], v[222:223]
	v_mul_f64 v[222:223], v[186:187], s[44:45]
	v_mul_f64 v[186:187], v[186:187], s[42:43]
	v_add_f64 v[218:219], v[218:219], v[233:234]
	v_add_f64 v[220:221], v[220:221], v[235:236]
	v_add_f64 v[235:236], v[192:193], -v[194:195]
	v_fma_f64 v[230:231], v[26:27], s[30:31], -v[222:223]
	v_fma_f64 v[222:223], v[26:27], s[30:31], v[222:223]
	v_add_f64 v[12:13], v[230:231], v[12:13]
	v_mul_f64 v[230:231], v[184:185], s[44:45]
	v_add_f64 v[222:223], v[222:223], v[226:227]
	v_mul_f64 v[184:185], v[184:185], s[42:43]
	v_fma_f64 v[226:227], v[28:29], s[30:31], -v[230:231]
	v_fma_f64 v[233:234], v[28:29], s[30:31], v[230:231]
	v_add_f64 v[226:227], v[226:227], v[228:229]
	v_fma_f64 v[228:229], v[26:27], s[12:13], -v[186:187]
	v_fma_f64 v[26:27], v[26:27], s[12:13], v[186:187]
	v_add_f64 v[186:187], v[196:197], -v[198:199]
	v_add_f64 v[224:225], v[233:234], v[224:225]
	v_add_f64 v[0:1], v[228:229], v[0:1]
	;; [unrolled: 1-line block ×3, first 2 shown]
	v_fma_f64 v[26:27], v[28:29], s[12:13], -v[184:185]
	v_fma_f64 v[228:229], v[28:29], s[12:13], v[184:185]
	v_add_f64 v[28:29], v[196:197], v[198:199]
	v_add_f64 v[184:185], v[200:201], -v[202:203]
	v_mul_f64 v[196:197], v[186:187], s[24:25]
	v_add_f64 v[24:25], v[26:27], v[24:25]
	v_add_f64 v[26:27], v[200:201], v[202:203]
	;; [unrolled: 1-line block ×3, first 2 shown]
	v_mul_f64 v[200:201], v[184:185], s[24:25]
	v_fma_f64 v[198:199], v[26:27], s[26:27], -v[196:197]
	v_fma_f64 v[196:197], v[26:27], s[26:27], v[196:197]
	v_fma_f64 v[202:203], v[28:29], s[26:27], v[200:201]
	v_add_f64 v[198:199], v[198:199], v[206:207]
	v_add_f64 v[30:31], v[196:197], v[30:31]
	v_fma_f64 v[196:197], v[28:29], s[26:27], -v[200:201]
	v_add_f64 v[202:203], v[202:203], v[210:211]
	v_add_f64 v[16:17], v[196:197], v[16:17]
	v_mul_f64 v[196:197], v[186:187], s[34:35]
	v_fma_f64 v[200:201], v[26:27], s[6:7], -v[196:197]
	v_add_f64 v[10:11], v[200:201], v[10:11]
	v_mul_f64 v[200:201], v[184:185], s[34:35]
	v_fma_f64 v[206:207], v[28:29], s[6:7], v[200:201]
	v_add_f64 v[206:207], v[206:207], v[4:5]
	v_fma_f64 v[4:5], v[26:27], s[6:7], v[196:197]
	v_add_f64 v[196:197], v[4:5], v[6:7]
	v_fma_f64 v[4:5], v[28:29], s[6:7], -v[200:201]
	v_add_f64 v[200:201], v[4:5], v[8:9]
	v_mul_f64 v[4:5], v[186:187], s[14:15]
	v_fma_f64 v[6:7], v[26:27], s[12:13], -v[4:5]
	v_fma_f64 v[4:5], v[26:27], s[12:13], v[4:5]
	v_add_f64 v[210:211], v[6:7], v[14:15]
	v_mul_f64 v[6:7], v[184:185], s[14:15]
	v_add_f64 v[204:205], v[4:5], v[204:205]
	v_mul_f64 v[14:15], v[235:236], s[38:39]
	v_fma_f64 v[4:5], v[28:29], s[12:13], -v[6:7]
	v_fma_f64 v[8:9], v[28:29], s[12:13], v[6:7]
	v_add_f64 v[208:209], v[4:5], v[208:209]
	v_mul_f64 v[4:5], v[186:187], s[44:45]
	v_add_f64 v[214:215], v[8:9], v[214:215]
	v_fma_f64 v[6:7], v[26:27], s[30:31], -v[4:5]
	v_fma_f64 v[4:5], v[26:27], s[30:31], v[4:5]
	v_add_f64 v[216:217], v[6:7], v[216:217]
	v_mul_f64 v[6:7], v[184:185], s[44:45]
	v_add_f64 v[212:213], v[4:5], v[212:213]
	;; [unrolled: 5-line block ×4, first 2 shown]
	v_mul_f64 v[12:13], v[237:238], s[38:39]
	v_fma_f64 v[4:5], v[28:29], s[22:23], -v[6:7]
	v_fma_f64 v[8:9], v[28:29], s[22:23], v[6:7]
	v_add_f64 v[226:227], v[4:5], v[226:227]
	v_mul_f64 v[4:5], v[186:187], s[16:17]
	v_add_f64 v[224:225], v[8:9], v[224:225]
	v_fma_f64 v[6:7], v[26:27], s[18:19], -v[4:5]
	v_add_f64 v[230:231], v[6:7], v[0:1]
	v_mul_f64 v[0:1], v[184:185], s[16:17]
	v_fma_f64 v[6:7], v[28:29], s[18:19], v[0:1]
	v_fma_f64 v[0:1], v[28:29], s[18:19], -v[0:1]
	v_add_f64 v[28:29], v[188:189], v[190:191]
	v_add_f64 v[233:234], v[6:7], v[2:3]
	v_fma_f64 v[2:3], v[26:27], s[18:19], v[4:5]
	v_mul_f64 v[6:7], v[235:236], s[28:29]
	v_add_f64 v[26:27], v[192:193], v[194:195]
	v_mul_f64 v[4:5], v[237:238], s[28:29]
	v_add_f64 v[24:25], v[0:1], v[24:25]
	v_add_f64 v[22:23], v[2:3], v[22:23]
	v_fma_f64 v[2:3], v[28:29], s[30:31], v[6:7]
	v_fma_f64 v[6:7], v[28:29], s[30:31], -v[6:7]
	v_fma_f64 v[0:1], v[26:27], s[30:31], -v[4:5]
	v_fma_f64 v[4:5], v[26:27], s[30:31], v[4:5]
	v_fma_f64 v[8:9], v[26:27], s[22:23], -v[12:13]
	v_fma_f64 v[12:13], v[26:27], s[22:23], v[12:13]
	v_add_f64 v[2:3], v[2:3], v[202:203]
	v_add_f64 v[6:7], v[6:7], v[16:17]
	v_mul_f64 v[16:17], v[237:238], s[24:25]
	v_add_f64 v[4:5], v[4:5], v[30:31]
	v_add_f64 v[0:1], v[0:1], v[198:199]
	;; [unrolled: 1-line block ×4, first 2 shown]
	v_fma_f64 v[10:11], v[28:29], s[22:23], v[14:15]
	v_fma_f64 v[14:15], v[28:29], s[22:23], -v[14:15]
	v_fma_f64 v[30:31], v[26:27], s[26:27], -v[16:17]
	v_fma_f64 v[16:17], v[26:27], s[26:27], v[16:17]
	v_add_f64 v[10:11], v[10:11], v[206:207]
	v_add_f64 v[14:15], v[14:15], v[200:201]
	;; [unrolled: 1-line block ×3, first 2 shown]
	v_mul_f64 v[30:31], v[235:236], s[24:25]
	v_add_f64 v[188:189], v[16:17], v[204:205]
	v_fma_f64 v[16:17], v[28:29], s[26:27], -v[30:31]
	v_fma_f64 v[186:187], v[28:29], s[26:27], v[30:31]
	v_add_f64 v[190:191], v[16:17], v[208:209]
	v_mul_f64 v[16:17], v[237:238], s[42:43]
	v_add_f64 v[186:187], v[186:187], v[214:215]
	v_fma_f64 v[30:31], v[26:27], s[12:13], -v[16:17]
	v_fma_f64 v[16:17], v[26:27], s[12:13], v[16:17]
	v_add_f64 v[192:193], v[30:31], v[216:217]
	;; [unrolled: 5-line block ×6, first 2 shown]
	v_mul_f64 v[30:31], v[235:236], s[34:35]
	v_add_f64 v[212:213], v[16:17], v[22:23]
	v_fma_f64 v[210:211], v[28:29], s[6:7], v[30:31]
	v_fma_f64 v[16:17], v[28:29], s[6:7], -v[30:31]
	v_add_f64 v[210:211], v[210:211], v[233:234]
	v_add_f64 v[214:215], v[16:17], v[24:25]
	ds_write_b128 v19, v[180:183]
	ds_write_b128 v19, v[0:3] offset:1248
	ds_write_b128 v19, v[8:11] offset:2496
	;; [unrolled: 1-line block ×12, first 2 shown]
	v_add_co_u32_e64 v12, s[0:1], s0, v232
	v_addc_co_u32_e64 v13, s[0:1], 0, v21, s[0:1]
	s_movk_i32 s0, 0x3000
	v_add_co_u32_e64 v4, s[0:1], s0, v232
	v_addc_co_u32_e64 v5, s[0:1], 0, v21, s[0:1]
	s_waitcnt lgkmcnt(0)
	s_barrier
	global_load_dwordx4 v[4:7], v[4:5], off offset:3936
	ds_read_b128 v[0:3], v19
	s_movk_i32 s0, 0x5000
	s_waitcnt vmcnt(0) lgkmcnt(0)
	v_mul_f64 v[8:9], v[2:3], v[6:7]
	v_fma_f64 v[8:9], v[0:1], v[4:5], -v[8:9]
	v_mul_f64 v[0:1], v[0:1], v[6:7]
	v_fma_f64 v[10:11], v[2:3], v[4:5], v[0:1]
	global_load_dwordx4 v[4:7], v[12:13], off offset:1248
	ds_read_b128 v[0:3], v19 offset:1248
	ds_write_b128 v19, v[8:11]
	s_waitcnt vmcnt(0) lgkmcnt(1)
	v_mul_f64 v[8:9], v[2:3], v[6:7]
	v_fma_f64 v[8:9], v[0:1], v[4:5], -v[8:9]
	v_mul_f64 v[0:1], v[0:1], v[6:7]
	v_fma_f64 v[10:11], v[2:3], v[4:5], v[0:1]
	global_load_dwordx4 v[4:7], v[12:13], off offset:2496
	ds_read_b128 v[0:3], v19 offset:2496
	ds_write_b128 v19, v[8:11] offset:1248
	s_waitcnt vmcnt(0) lgkmcnt(1)
	v_mul_f64 v[8:9], v[2:3], v[6:7]
	v_fma_f64 v[8:9], v[0:1], v[4:5], -v[8:9]
	v_mul_f64 v[0:1], v[0:1], v[6:7]
	v_fma_f64 v[10:11], v[2:3], v[4:5], v[0:1]
	global_load_dwordx4 v[4:7], v[12:13], off offset:3744
	ds_read_b128 v[0:3], v19 offset:3744
	v_add_co_u32_e64 v12, s[0:1], s0, v232
	v_addc_co_u32_e64 v13, s[0:1], 0, v21, s[0:1]
	s_movk_i32 s0, 0x6000
	ds_write_b128 v19, v[8:11] offset:2496
	s_waitcnt vmcnt(0) lgkmcnt(1)
	v_mul_f64 v[8:9], v[2:3], v[6:7]
	v_fma_f64 v[8:9], v[0:1], v[4:5], -v[8:9]
	v_mul_f64 v[0:1], v[0:1], v[6:7]
	v_fma_f64 v[10:11], v[2:3], v[4:5], v[0:1]
	global_load_dwordx4 v[4:7], v[12:13], off offset:736
	ds_read_b128 v[0:3], v19 offset:4992
	ds_write_b128 v19, v[8:11] offset:3744
	s_waitcnt vmcnt(0) lgkmcnt(1)
	v_mul_f64 v[8:9], v[2:3], v[6:7]
	v_fma_f64 v[8:9], v[0:1], v[4:5], -v[8:9]
	v_mul_f64 v[0:1], v[0:1], v[6:7]
	v_fma_f64 v[10:11], v[2:3], v[4:5], v[0:1]
	global_load_dwordx4 v[4:7], v[12:13], off offset:1984
	ds_read_b128 v[0:3], v19 offset:6240
	ds_write_b128 v19, v[8:11] offset:4992
	s_waitcnt vmcnt(0) lgkmcnt(1)
	v_mul_f64 v[8:9], v[2:3], v[6:7]
	v_fma_f64 v[8:9], v[0:1], v[4:5], -v[8:9]
	v_mul_f64 v[0:1], v[0:1], v[6:7]
	v_fma_f64 v[10:11], v[2:3], v[4:5], v[0:1]
	global_load_dwordx4 v[4:7], v[12:13], off offset:3232
	ds_read_b128 v[0:3], v19 offset:7488
	v_add_co_u32_e64 v12, s[0:1], s0, v232
	v_addc_co_u32_e64 v13, s[0:1], 0, v21, s[0:1]
	s_movk_i32 s0, 0x7000
	ds_write_b128 v19, v[8:11] offset:6240
	s_waitcnt vmcnt(0) lgkmcnt(1)
	v_mul_f64 v[8:9], v[2:3], v[6:7]
	v_fma_f64 v[8:9], v[0:1], v[4:5], -v[8:9]
	v_mul_f64 v[0:1], v[0:1], v[6:7]
	v_fma_f64 v[10:11], v[2:3], v[4:5], v[0:1]
	global_load_dwordx4 v[4:7], v[12:13], off offset:384
	ds_read_b128 v[0:3], v19 offset:8736
	ds_write_b128 v19, v[8:11] offset:7488
	s_waitcnt vmcnt(0) lgkmcnt(1)
	v_mul_f64 v[8:9], v[2:3], v[6:7]
	v_fma_f64 v[8:9], v[0:1], v[4:5], -v[8:9]
	v_mul_f64 v[0:1], v[0:1], v[6:7]
	v_fma_f64 v[10:11], v[2:3], v[4:5], v[0:1]
	global_load_dwordx4 v[4:7], v[12:13], off offset:1632
	ds_read_b128 v[0:3], v19 offset:9984
	;; [unrolled: 8-line block ×3, first 2 shown]
	v_add_co_u32_e64 v12, s[0:1], s0, v232
	v_addc_co_u32_e64 v13, s[0:1], 0, v21, s[0:1]
	ds_write_b128 v19, v[8:11] offset:9984
	s_waitcnt vmcnt(0) lgkmcnt(1)
	v_mul_f64 v[8:9], v[2:3], v[6:7]
	v_fma_f64 v[8:9], v[0:1], v[4:5], -v[8:9]
	v_mul_f64 v[0:1], v[0:1], v[6:7]
	v_fma_f64 v[10:11], v[2:3], v[4:5], v[0:1]
	global_load_dwordx4 v[4:7], v[12:13], off offset:32
	ds_read_b128 v[0:3], v19 offset:12480
	ds_write_b128 v19, v[8:11] offset:11232
	s_waitcnt vmcnt(0) lgkmcnt(1)
	v_mul_f64 v[8:9], v[2:3], v[6:7]
	v_fma_f64 v[8:9], v[0:1], v[4:5], -v[8:9]
	v_mul_f64 v[0:1], v[0:1], v[6:7]
	v_fma_f64 v[10:11], v[2:3], v[4:5], v[0:1]
	global_load_dwordx4 v[4:7], v[12:13], off offset:1280
	ds_read_b128 v[0:3], v19 offset:13728
	;; [unrolled: 8-line block ×3, first 2 shown]
	ds_write_b128 v19, v[8:11] offset:13728
	s_waitcnt vmcnt(0) lgkmcnt(1)
	v_mul_f64 v[8:9], v[2:3], v[6:7]
	v_fma_f64 v[8:9], v[0:1], v[4:5], -v[8:9]
	v_mul_f64 v[0:1], v[0:1], v[6:7]
	v_fma_f64 v[10:11], v[2:3], v[4:5], v[0:1]
	ds_write_b128 v19, v[8:11] offset:14976
	s_waitcnt lgkmcnt(0)
	s_barrier
	ds_read_b128 v[224:227], v19
	ds_read_b128 v[0:3], v19 offset:1248
	ds_read_b128 v[216:219], v19 offset:2496
	;; [unrolled: 1-line block ×12, first 2 shown]
	s_waitcnt lgkmcnt(11)
	v_add_f64 v[10:11], v[226:227], v[2:3]
	v_add_f64 v[8:9], v[224:225], v[0:1]
	s_waitcnt lgkmcnt(0)
	s_barrier
	v_add_f64 v[10:11], v[10:11], v[218:219]
	v_add_f64 v[8:9], v[8:9], v[216:217]
	;; [unrolled: 1-line block ×24, first 2 shown]
	v_add_f64 v[0:1], v[0:1], -v[4:5]
	v_add_f64 v[2:3], v[2:3], -v[6:7]
	v_mul_f64 v[12:13], v[10:11], s[22:23]
	v_mul_f64 v[23:24], v[10:11], s[12:13]
	;; [unrolled: 1-line block ×8, first 2 shown]
	v_fma_f64 v[14:15], v[0:1], s[38:39], v[12:13]
	v_fma_f64 v[12:13], v[0:1], s[20:21], v[12:13]
	;; [unrolled: 1-line block ×4, first 2 shown]
	v_mul_f64 v[27:28], v[2:3], s[4:5]
	v_fma_f64 v[230:231], v[0:1], s[34:35], v[228:229]
	v_fma_f64 v[228:229], v[0:1], s[4:5], v[228:229]
	v_mul_f64 v[232:233], v[2:3], s[16:17]
	v_fma_f64 v[238:239], v[0:1], s[40:41], v[236:237]
	v_fma_f64 v[236:237], v[0:1], s[16:17], v[236:237]
	;; [unrolled: 3-line block ×4, first 2 shown]
	v_add_f64 v[10:11], v[218:219], v[222:223]
	v_add_f64 v[218:219], v[218:219], -v[222:223]
	v_fma_f64 v[6:7], v[8:9], s[22:23], v[4:5]
	v_fma_f64 v[4:5], v[8:9], s[22:23], -v[4:5]
	v_fma_f64 v[21:22], v[8:9], s[12:13], v[16:17]
	v_fma_f64 v[16:17], v[8:9], s[12:13], -v[16:17]
	;; [unrolled: 2-line block ×6, first 2 shown]
	v_add_f64 v[8:9], v[216:217], v[220:221]
	v_add_f64 v[216:217], v[216:217], -v[220:221]
	v_mul_f64 v[220:221], v[218:219], s[14:15]
	v_add_f64 v[6:7], v[224:225], v[6:7]
	v_add_f64 v[4:5], v[224:225], v[4:5]
	;; [unrolled: 1-line block ×7, first 2 shown]
	v_fma_f64 v[222:223], v[8:9], s[12:13], v[220:221]
	v_fma_f64 v[220:221], v[8:9], s[12:13], -v[220:221]
	v_add_f64 v[234:235], v[224:225], v[234:235]
	v_add_f64 v[232:233], v[224:225], v[232:233]
	;; [unrolled: 1-line block ×7, first 2 shown]
	v_mul_f64 v[222:223], v[10:11], s[12:13]
	v_add_f64 v[4:5], v[220:221], v[4:5]
	v_add_f64 v[23:24], v[226:227], v[23:24]
	;; [unrolled: 1-line block ×7, first 2 shown]
	v_fma_f64 v[220:221], v[216:217], s[14:15], v[222:223]
	v_fma_f64 v[224:225], v[216:217], s[42:43], v[222:223]
	v_add_f64 v[236:237], v[226:227], v[236:237]
	v_add_f64 v[246:247], v[226:227], v[246:247]
	;; [unrolled: 1-line block ×6, first 2 shown]
	v_mul_f64 v[220:221], v[218:219], s[16:17]
	v_add_f64 v[14:15], v[224:225], v[14:15]
	v_fma_f64 v[222:223], v[8:9], s[18:19], v[220:221]
	v_fma_f64 v[220:221], v[8:9], s[18:19], -v[220:221]
	v_add_f64 v[21:22], v[222:223], v[21:22]
	v_mul_f64 v[222:223], v[10:11], s[18:19]
	v_add_f64 v[16:17], v[220:221], v[16:17]
	v_fma_f64 v[220:221], v[216:217], s[16:17], v[222:223]
	v_fma_f64 v[224:225], v[216:217], s[40:41], v[222:223]
	v_add_f64 v[23:24], v[220:221], v[23:24]
	v_mul_f64 v[220:221], v[218:219], s[28:29]
	v_add_f64 v[25:26], v[224:225], v[25:26]
	v_fma_f64 v[222:223], v[8:9], s[30:31], v[220:221]
	v_fma_f64 v[220:221], v[8:9], s[30:31], -v[220:221]
	v_add_f64 v[29:30], v[222:223], v[29:30]
	v_mul_f64 v[222:223], v[10:11], s[30:31]
	v_add_f64 v[27:28], v[220:221], v[27:28]
	v_fma_f64 v[224:225], v[216:217], s[44:45], v[222:223]
	v_fma_f64 v[220:221], v[216:217], s[28:29], v[222:223]
	v_mul_f64 v[222:223], v[218:219], s[36:37]
	v_add_f64 v[224:225], v[224:225], v[230:231]
	v_add_f64 v[220:221], v[220:221], v[228:229]
	v_fma_f64 v[226:227], v[8:9], s[26:27], v[222:223]
	v_fma_f64 v[222:223], v[8:9], s[26:27], -v[222:223]
	v_mul_f64 v[228:229], v[10:11], s[26:27]
	v_add_f64 v[226:227], v[226:227], v[234:235]
	v_add_f64 v[222:223], v[222:223], v[232:233]
	v_mul_f64 v[232:233], v[218:219], s[34:35]
	v_fma_f64 v[230:231], v[216:217], s[24:25], v[228:229]
	v_fma_f64 v[228:229], v[216:217], s[36:37], v[228:229]
	v_mul_f64 v[218:219], v[218:219], s[38:39]
	v_fma_f64 v[234:235], v[8:9], s[6:7], v[232:233]
	v_fma_f64 v[232:233], v[8:9], s[6:7], -v[232:233]
	v_add_f64 v[228:229], v[228:229], v[236:237]
	v_mul_f64 v[236:237], v[10:11], s[6:7]
	v_mul_f64 v[10:11], v[10:11], s[22:23]
	v_add_f64 v[230:231], v[230:231], v[238:239]
	v_add_f64 v[234:235], v[234:235], v[242:243]
	;; [unrolled: 1-line block ×3, first 2 shown]
	v_fma_f64 v[240:241], v[8:9], s[22:23], v[218:219]
	v_fma_f64 v[8:9], v[8:9], s[22:23], -v[218:219]
	v_fma_f64 v[242:243], v[216:217], s[20:21], v[10:11]
	v_fma_f64 v[238:239], v[216:217], s[4:5], v[236:237]
	v_fma_f64 v[236:237], v[216:217], s[34:35], v[236:237]
	v_add_f64 v[240:241], v[240:241], v[248:249]
	v_add_f64 v[2:3], v[8:9], v[2:3]
	v_fma_f64 v[8:9], v[216:217], s[38:39], v[10:11]
	v_add_f64 v[10:11], v[210:211], v[214:215]
	v_add_f64 v[210:211], v[210:211], -v[214:215]
	v_add_f64 v[238:239], v[238:239], v[246:247]
	v_add_f64 v[236:237], v[236:237], v[244:245]
	;; [unrolled: 1-line block ×5, first 2 shown]
	v_add_f64 v[208:209], v[208:209], -v[212:213]
	v_mul_f64 v[212:213], v[210:211], s[4:5]
	v_fma_f64 v[214:215], v[8:9], s[6:7], v[212:213]
	v_fma_f64 v[212:213], v[8:9], s[6:7], -v[212:213]
	v_add_f64 v[6:7], v[214:215], v[6:7]
	v_mul_f64 v[214:215], v[10:11], s[6:7]
	v_add_f64 v[4:5], v[212:213], v[4:5]
	v_fma_f64 v[212:213], v[208:209], s[4:5], v[214:215]
	v_fma_f64 v[216:217], v[208:209], s[34:35], v[214:215]
	v_add_f64 v[12:13], v[212:213], v[12:13]
	v_mul_f64 v[212:213], v[210:211], s[28:29]
	v_add_f64 v[14:15], v[216:217], v[14:15]
	v_fma_f64 v[214:215], v[8:9], s[30:31], v[212:213]
	v_fma_f64 v[212:213], v[8:9], s[30:31], -v[212:213]
	v_add_f64 v[21:22], v[214:215], v[21:22]
	v_mul_f64 v[214:215], v[10:11], s[30:31]
	v_add_f64 v[16:17], v[212:213], v[16:17]
	v_fma_f64 v[212:213], v[208:209], s[28:29], v[214:215]
	v_fma_f64 v[216:217], v[208:209], s[44:45], v[214:215]
	v_add_f64 v[23:24], v[212:213], v[23:24]
	v_mul_f64 v[212:213], v[210:211], s[40:41]
	v_add_f64 v[25:26], v[216:217], v[25:26]
	v_fma_f64 v[214:215], v[8:9], s[18:19], v[212:213]
	v_fma_f64 v[212:213], v[8:9], s[18:19], -v[212:213]
	v_add_f64 v[29:30], v[214:215], v[29:30]
	v_mul_f64 v[214:215], v[10:11], s[18:19]
	v_add_f64 v[27:28], v[212:213], v[27:28]
	v_fma_f64 v[216:217], v[208:209], s[16:17], v[214:215]
	v_fma_f64 v[212:213], v[208:209], s[40:41], v[214:215]
	v_mul_f64 v[214:215], v[210:211], s[38:39]
	v_add_f64 v[216:217], v[216:217], v[224:225]
	v_add_f64 v[212:213], v[212:213], v[220:221]
	v_fma_f64 v[218:219], v[8:9], s[22:23], v[214:215]
	v_fma_f64 v[214:215], v[8:9], s[22:23], -v[214:215]
	v_mul_f64 v[220:221], v[10:11], s[22:23]
	v_add_f64 v[218:219], v[218:219], v[226:227]
	v_add_f64 v[214:215], v[214:215], v[222:223]
	v_mul_f64 v[222:223], v[210:211], s[14:15]
	v_fma_f64 v[224:225], v[208:209], s[20:21], v[220:221]
	v_fma_f64 v[220:221], v[208:209], s[38:39], v[220:221]
	v_mul_f64 v[210:211], v[210:211], s[24:25]
	v_fma_f64 v[226:227], v[8:9], s[12:13], v[222:223]
	v_fma_f64 v[222:223], v[8:9], s[12:13], -v[222:223]
	v_add_f64 v[220:221], v[220:221], v[228:229]
	v_mul_f64 v[228:229], v[10:11], s[12:13]
	v_mul_f64 v[10:11], v[10:11], s[26:27]
	v_add_f64 v[224:225], v[224:225], v[230:231]
	v_add_f64 v[226:227], v[226:227], v[234:235]
	;; [unrolled: 1-line block ×3, first 2 shown]
	v_fma_f64 v[232:233], v[8:9], s[26:27], v[210:211]
	v_fma_f64 v[8:9], v[8:9], s[26:27], -v[210:211]
	v_fma_f64 v[234:235], v[208:209], s[36:37], v[10:11]
	v_fma_f64 v[230:231], v[208:209], s[42:43], v[228:229]
	;; [unrolled: 1-line block ×3, first 2 shown]
	v_add_f64 v[232:233], v[232:233], v[240:241]
	v_add_f64 v[2:3], v[8:9], v[2:3]
	v_fma_f64 v[8:9], v[208:209], s[24:25], v[10:11]
	v_add_f64 v[10:11], v[202:203], v[206:207]
	v_add_f64 v[202:203], v[202:203], -v[206:207]
	v_add_f64 v[230:231], v[230:231], v[238:239]
	v_add_f64 v[228:229], v[228:229], v[236:237]
	;; [unrolled: 1-line block ×5, first 2 shown]
	v_add_f64 v[200:201], v[200:201], -v[204:205]
	v_mul_f64 v[204:205], v[202:203], s[16:17]
	v_fma_f64 v[206:207], v[8:9], s[18:19], v[204:205]
	v_fma_f64 v[204:205], v[8:9], s[18:19], -v[204:205]
	v_add_f64 v[6:7], v[206:207], v[6:7]
	v_mul_f64 v[206:207], v[10:11], s[18:19]
	v_add_f64 v[4:5], v[204:205], v[4:5]
	v_fma_f64 v[204:205], v[200:201], s[16:17], v[206:207]
	v_fma_f64 v[208:209], v[200:201], s[40:41], v[206:207]
	v_add_f64 v[12:13], v[204:205], v[12:13]
	v_mul_f64 v[204:205], v[202:203], s[36:37]
	v_add_f64 v[14:15], v[208:209], v[14:15]
	v_fma_f64 v[206:207], v[8:9], s[26:27], v[204:205]
	v_fma_f64 v[204:205], v[8:9], s[26:27], -v[204:205]
	v_add_f64 v[21:22], v[206:207], v[21:22]
	v_mul_f64 v[206:207], v[10:11], s[26:27]
	v_add_f64 v[16:17], v[204:205], v[16:17]
	v_fma_f64 v[204:205], v[200:201], s[36:37], v[206:207]
	v_fma_f64 v[208:209], v[200:201], s[24:25], v[206:207]
	v_add_f64 v[23:24], v[204:205], v[23:24]
	v_mul_f64 v[204:205], v[202:203], s[38:39]
	v_add_f64 v[25:26], v[208:209], v[25:26]
	v_fma_f64 v[206:207], v[8:9], s[22:23], v[204:205]
	v_fma_f64 v[204:205], v[8:9], s[22:23], -v[204:205]
	v_add_f64 v[29:30], v[206:207], v[29:30]
	v_mul_f64 v[206:207], v[10:11], s[22:23]
	v_add_f64 v[27:28], v[204:205], v[27:28]
	v_fma_f64 v[208:209], v[200:201], s[20:21], v[206:207]
	v_fma_f64 v[204:205], v[200:201], s[38:39], v[206:207]
	v_mul_f64 v[206:207], v[202:203], s[4:5]
	v_add_f64 v[208:209], v[208:209], v[216:217]
	v_add_f64 v[204:205], v[204:205], v[212:213]
	v_fma_f64 v[210:211], v[8:9], s[6:7], v[206:207]
	v_fma_f64 v[206:207], v[8:9], s[6:7], -v[206:207]
	v_mul_f64 v[212:213], v[10:11], s[6:7]
	v_add_f64 v[210:211], v[210:211], v[218:219]
	v_add_f64 v[206:207], v[206:207], v[214:215]
	v_mul_f64 v[214:215], v[202:203], s[44:45]
	v_fma_f64 v[216:217], v[200:201], s[34:35], v[212:213]
	v_fma_f64 v[212:213], v[200:201], s[4:5], v[212:213]
	v_mul_f64 v[202:203], v[202:203], s[42:43]
	v_fma_f64 v[218:219], v[8:9], s[30:31], v[214:215]
	v_fma_f64 v[214:215], v[8:9], s[30:31], -v[214:215]
	v_add_f64 v[212:213], v[212:213], v[220:221]
	v_mul_f64 v[220:221], v[10:11], s[30:31]
	v_mul_f64 v[10:11], v[10:11], s[12:13]
	v_add_f64 v[216:217], v[216:217], v[224:225]
	v_add_f64 v[218:219], v[218:219], v[226:227]
	;; [unrolled: 1-line block ×3, first 2 shown]
	v_fma_f64 v[222:223], v[8:9], s[12:13], v[202:203]
	v_fma_f64 v[8:9], v[8:9], s[12:13], -v[202:203]
	v_fma_f64 v[226:227], v[200:201], s[14:15], v[10:11]
	v_fma_f64 v[224:225], v[200:201], s[28:29], v[220:221]
	;; [unrolled: 1-line block ×3, first 2 shown]
	v_add_f64 v[222:223], v[222:223], v[232:233]
	v_add_f64 v[2:3], v[8:9], v[2:3]
	v_fma_f64 v[8:9], v[200:201], s[42:43], v[10:11]
	v_add_f64 v[10:11], v[194:195], v[198:199]
	v_add_f64 v[194:195], v[194:195], -v[198:199]
	v_add_f64 v[224:225], v[224:225], v[230:231]
	v_add_f64 v[220:221], v[220:221], v[228:229]
	v_add_f64 v[230:231], v[186:187], -v[190:191]
	v_add_f64 v[226:227], v[226:227], v[234:235]
	v_add_f64 v[228:229], v[184:185], -v[188:189]
	v_add_f64 v[0:1], v[8:9], v[0:1]
	v_add_f64 v[8:9], v[192:193], v[196:197]
	v_add_f64 v[192:193], v[192:193], -v[196:197]
	v_mul_f64 v[196:197], v[194:195], s[24:25]
	v_fma_f64 v[198:199], v[8:9], s[26:27], v[196:197]
	v_fma_f64 v[196:197], v[8:9], s[26:27], -v[196:197]
	v_add_f64 v[6:7], v[198:199], v[6:7]
	v_mul_f64 v[198:199], v[10:11], s[26:27]
	v_add_f64 v[4:5], v[196:197], v[4:5]
	v_fma_f64 v[196:197], v[192:193], s[24:25], v[198:199]
	v_fma_f64 v[200:201], v[192:193], s[36:37], v[198:199]
	v_add_f64 v[12:13], v[196:197], v[12:13]
	v_mul_f64 v[196:197], v[194:195], s[34:35]
	v_add_f64 v[14:15], v[200:201], v[14:15]
	v_fma_f64 v[198:199], v[8:9], s[6:7], v[196:197]
	v_fma_f64 v[196:197], v[8:9], s[6:7], -v[196:197]
	v_add_f64 v[21:22], v[198:199], v[21:22]
	v_mul_f64 v[198:199], v[10:11], s[6:7]
	v_add_f64 v[16:17], v[196:197], v[16:17]
	v_fma_f64 v[196:197], v[192:193], s[34:35], v[198:199]
	v_fma_f64 v[200:201], v[192:193], s[4:5], v[198:199]
	v_add_f64 v[23:24], v[196:197], v[23:24]
	v_mul_f64 v[196:197], v[194:195], s[14:15]
	v_add_f64 v[25:26], v[200:201], v[25:26]
	v_fma_f64 v[198:199], v[8:9], s[12:13], v[196:197]
	v_fma_f64 v[196:197], v[8:9], s[12:13], -v[196:197]
	v_add_f64 v[29:30], v[198:199], v[29:30]
	v_mul_f64 v[198:199], v[10:11], s[12:13]
	v_add_f64 v[27:28], v[196:197], v[27:28]
	v_fma_f64 v[200:201], v[192:193], s[42:43], v[198:199]
	v_fma_f64 v[196:197], v[192:193], s[14:15], v[198:199]
	v_mul_f64 v[198:199], v[194:195], s[44:45]
	v_add_f64 v[200:201], v[200:201], v[208:209]
	v_add_f64 v[196:197], v[196:197], v[204:205]
	v_fma_f64 v[202:203], v[8:9], s[30:31], v[198:199]
	v_mul_f64 v[204:205], v[10:11], s[30:31]
	v_fma_f64 v[198:199], v[8:9], s[30:31], -v[198:199]
	v_add_f64 v[202:203], v[202:203], v[210:211]
	v_fma_f64 v[208:209], v[192:193], s[28:29], v[204:205]
	v_add_f64 v[198:199], v[198:199], v[206:207]
	v_fma_f64 v[204:205], v[192:193], s[44:45], v[204:205]
	v_mul_f64 v[206:207], v[194:195], s[38:39]
	v_mul_f64 v[194:195], v[194:195], s[16:17]
	v_add_f64 v[208:209], v[208:209], v[216:217]
	v_add_f64 v[204:205], v[204:205], v[212:213]
	v_fma_f64 v[210:211], v[8:9], s[22:23], v[206:207]
	v_mul_f64 v[212:213], v[10:11], s[22:23]
	v_fma_f64 v[206:207], v[8:9], s[22:23], -v[206:207]
	v_mul_f64 v[10:11], v[10:11], s[18:19]
	v_add_f64 v[210:211], v[210:211], v[218:219]
	v_fma_f64 v[216:217], v[192:193], s[20:21], v[212:213]
	v_add_f64 v[206:207], v[206:207], v[214:215]
	v_fma_f64 v[212:213], v[192:193], s[38:39], v[212:213]
	v_fma_f64 v[214:215], v[8:9], s[18:19], v[194:195]
	v_fma_f64 v[8:9], v[8:9], s[18:19], -v[194:195]
	v_fma_f64 v[218:219], v[192:193], s[40:41], v[10:11]
	v_add_f64 v[216:217], v[216:217], v[224:225]
	v_add_f64 v[224:225], v[184:185], v[188:189]
	v_add_f64 v[212:213], v[212:213], v[220:221]
	v_add_f64 v[214:215], v[214:215], v[222:223]
	v_add_f64 v[220:221], v[8:9], v[2:3]
	v_fma_f64 v[2:3], v[192:193], s[16:17], v[10:11]
	v_mul_f64 v[8:9], v[230:231], s[28:29]
	v_add_f64 v[218:219], v[218:219], v[226:227]
	v_add_f64 v[226:227], v[186:187], v[190:191]
	;; [unrolled: 1-line block ×3, first 2 shown]
	v_fma_f64 v[0:1], v[224:225], s[30:31], v[8:9]
	v_fma_f64 v[8:9], v[224:225], s[30:31], -v[8:9]
	v_mul_f64 v[10:11], v[226:227], s[22:23]
	v_add_f64 v[0:1], v[0:1], v[6:7]
	v_mul_f64 v[6:7], v[226:227], s[30:31]
	v_add_f64 v[184:185], v[8:9], v[4:5]
	v_mul_f64 v[8:9], v[230:231], s[38:39]
	v_fma_f64 v[4:5], v[228:229], s[28:29], v[6:7]
	v_fma_f64 v[2:3], v[228:229], s[44:45], v[6:7]
	;; [unrolled: 1-line block ×4, first 2 shown]
	v_add_f64 v[186:187], v[4:5], v[12:13]
	v_fma_f64 v[4:5], v[224:225], s[22:23], v[8:9]
	v_fma_f64 v[8:9], v[224:225], s[22:23], -v[8:9]
	v_add_f64 v[2:3], v[2:3], v[14:15]
	v_add_f64 v[10:11], v[10:11], v[23:24]
	;; [unrolled: 1-line block ×5, first 2 shown]
	v_mul_f64 v[16:17], v[230:231], s[24:25]
	v_mul_f64 v[21:22], v[226:227], s[26:27]
	v_fma_f64 v[12:13], v[224:225], s[26:27], v[16:17]
	v_fma_f64 v[16:17], v[224:225], s[26:27], -v[16:17]
	v_fma_f64 v[14:15], v[228:229], s[36:37], v[21:22]
	v_add_f64 v[12:13], v[12:13], v[29:30]
	v_add_f64 v[188:189], v[16:17], v[27:28]
	v_fma_f64 v[16:17], v[228:229], s[24:25], v[21:22]
	v_add_f64 v[14:15], v[14:15], v[200:201]
	v_add_f64 v[190:191], v[16:17], v[196:197]
	v_mul_f64 v[16:17], v[230:231], s[42:43]
	v_fma_f64 v[21:22], v[224:225], s[12:13], v[16:17]
	v_fma_f64 v[16:17], v[224:225], s[12:13], -v[16:17]
	v_add_f64 v[192:193], v[21:22], v[202:203]
	v_mul_f64 v[21:22], v[226:227], s[12:13]
	v_add_f64 v[196:197], v[16:17], v[198:199]
	v_fma_f64 v[16:17], v[228:229], s[42:43], v[21:22]
	v_fma_f64 v[23:24], v[228:229], s[14:15], v[21:22]
	v_add_f64 v[198:199], v[16:17], v[204:205]
	v_mul_f64 v[16:17], v[230:231], s[16:17]
	v_add_f64 v[194:195], v[23:24], v[208:209]
	v_fma_f64 v[21:22], v[224:225], s[18:19], v[16:17]
	v_fma_f64 v[16:17], v[224:225], s[18:19], -v[16:17]
	v_add_f64 v[200:201], v[21:22], v[210:211]
	v_mul_f64 v[21:22], v[226:227], s[18:19]
	v_add_f64 v[204:205], v[16:17], v[206:207]
	v_fma_f64 v[16:17], v[228:229], s[16:17], v[21:22]
	v_fma_f64 v[23:24], v[228:229], s[40:41], v[21:22]
	v_add_f64 v[206:207], v[16:17], v[212:213]
	v_mul_f64 v[16:17], v[230:231], s[34:35]
	v_add_f64 v[202:203], v[23:24], v[216:217]
	v_fma_f64 v[21:22], v[224:225], s[6:7], v[16:17]
	v_fma_f64 v[16:17], v[224:225], s[6:7], -v[16:17]
	v_add_f64 v[208:209], v[21:22], v[214:215]
	v_mul_f64 v[21:22], v[226:227], s[6:7]
	v_add_f64 v[212:213], v[16:17], v[220:221]
	v_fma_f64 v[23:24], v[228:229], s[4:5], v[21:22]
	v_fma_f64 v[16:17], v[228:229], s[34:35], v[21:22]
	v_add_f64 v[210:211], v[23:24], v[218:219]
	v_add_f64 v[214:215], v[16:17], v[222:223]
	ds_write_b128 v255, v[180:183]
	ds_write_b128 v255, v[0:3] offset:16
	ds_write_b128 v255, v[4:7] offset:32
	;; [unrolled: 1-line block ×12, first 2 shown]
	s_waitcnt lgkmcnt(0)
	s_barrier
	ds_read_b128 v[192:195], v19
	ds_read_b128 v[228:231], v19 offset:2704
	ds_read_b128 v[224:227], v19 offset:5408
	;; [unrolled: 1-line block ×11, first 2 shown]
	s_and_saveexec_b64 s[0:1], vcc
	s_cbranch_execz .LBB0_7
; %bb.6:
	ds_read_b128 v[184:187], v19 offset:2496
	ds_read_b128 v[112:115], v19 offset:5200
	;; [unrolled: 1-line block ×6, first 2 shown]
.LBB0_7:
	s_or_b64 exec, exec, s[0:1]
	s_waitcnt lgkmcnt(9)
	v_mul_f64 v[4:5], v[78:79], v[226:227]
	s_waitcnt lgkmcnt(8)
	v_mul_f64 v[8:9], v[74:75], v[218:219]
	v_mul_f64 v[10:11], v[74:75], v[216:217]
	s_waitcnt lgkmcnt(7)
	v_mul_f64 v[12:13], v[70:71], v[214:215]
	s_waitcnt lgkmcnt(6)
	v_mul_f64 v[21:22], v[82:83], v[204:205]
	v_mul_f64 v[2:3], v[86:87], v[228:229]
	;; [unrolled: 1-line block ×4, first 2 shown]
	v_fma_f64 v[4:5], v[76:77], v[224:225], v[4:5]
	v_fma_f64 v[8:9], v[72:73], v[216:217], v[8:9]
	v_mul_f64 v[16:17], v[82:83], v[206:207]
	v_fma_f64 v[10:11], v[72:73], v[218:219], -v[10:11]
	v_fma_f64 v[12:13], v[68:69], v[212:213], v[12:13]
	v_fma_f64 v[21:22], v[80:81], v[206:207], -v[21:22]
	s_waitcnt lgkmcnt(1)
	v_mul_f64 v[72:73], v[98:99], v[202:203]
	v_mul_f64 v[0:1], v[86:87], v[230:231]
	v_fma_f64 v[2:3], v[84:85], v[230:231], -v[2:3]
	v_fma_f64 v[6:7], v[76:77], v[226:227], -v[6:7]
	;; [unrolled: 1-line block ×3, first 2 shown]
	v_fma_f64 v[16:17], v[80:81], v[204:205], v[16:17]
	v_mul_f64 v[74:75], v[98:99], v[200:201]
	v_add_f64 v[78:79], v[4:5], v[12:13]
	v_fma_f64 v[82:83], v[96:97], v[200:201], v[72:73]
	v_add_f64 v[72:73], v[10:11], v[21:22]
	v_fma_f64 v[0:1], v[84:85], v[228:229], v[0:1]
	v_mul_f64 v[68:69], v[102:103], v[198:199]
	v_mul_f64 v[70:71], v[102:103], v[196:197]
	s_waitcnt lgkmcnt(0)
	v_mul_f64 v[76:77], v[94:95], v[190:191]
	v_fma_f64 v[74:75], v[96:97], v[202:203], -v[74:75]
	v_fma_f64 v[78:79], v[78:79], -0.5, v[192:193]
	v_add_f64 v[84:85], v[6:7], -v[14:15]
	v_mul_f64 v[86:87], v[94:95], v[188:189]
	v_add_f64 v[94:95], v[8:9], v[16:17]
	v_fma_f64 v[72:73], v[72:73], -0.5, v[2:3]
	v_add_f64 v[96:97], v[8:9], -v[16:17]
	s_mov_b32 s0, 0xe8584caa
	s_mov_b32 s1, 0xbfebb67a
	;; [unrolled: 1-line block ×4, first 2 shown]
	v_mul_f64 v[27:28], v[106:107], v[210:211]
	v_fma_f64 v[80:81], v[100:101], v[196:197], v[68:69]
	v_fma_f64 v[70:71], v[100:101], v[198:199], -v[70:71]
	v_add_f64 v[68:69], v[192:193], v[4:5]
	v_fma_f64 v[98:99], v[84:85], s[0:1], v[78:79]
	v_add_f64 v[100:101], v[6:7], v[14:15]
	v_fma_f64 v[94:95], v[94:95], -0.5, v[0:1]
	v_add_f64 v[102:103], v[10:11], -v[21:22]
	v_fma_f64 v[78:79], v[84:85], s[4:5], v[78:79]
	v_fma_f64 v[84:85], v[96:97], s[4:5], v[72:73]
	;; [unrolled: 1-line block ×3, first 2 shown]
	v_add_f64 v[0:1], v[0:1], v[8:9]
	v_mul_f64 v[25:26], v[110:111], v[220:221]
	v_mul_f64 v[29:30], v[106:107], v[208:209]
	v_fma_f64 v[27:28], v[104:105], v[208:209], v[27:28]
	v_add_f64 v[68:69], v[68:69], v[12:13]
	v_add_f64 v[6:7], v[194:195], v[6:7]
	v_fma_f64 v[96:97], v[100:101], -0.5, v[194:195]
	v_add_f64 v[4:5], v[4:5], -v[12:13]
	v_fma_f64 v[8:9], v[102:103], s[0:1], v[94:95]
	v_fma_f64 v[12:13], v[102:103], s[4:5], v[94:95]
	v_mul_f64 v[94:95], v[84:85], s[0:1]
	v_mul_f64 v[100:101], v[72:73], s[0:1]
	v_add_f64 v[2:3], v[2:3], v[10:11]
	v_mul_f64 v[10:11], v[72:73], -0.5
	v_add_f64 v[16:17], v[0:1], v[16:17]
	v_fma_f64 v[86:87], v[92:93], v[190:191], -v[86:87]
	v_mul_f64 v[23:24], v[110:111], v[222:223]
	v_fma_f64 v[25:26], v[108:109], v[222:223], -v[25:26]
	v_fma_f64 v[29:30], v[104:105], v[210:211], -v[29:30]
	v_fma_f64 v[76:77], v[92:93], v[188:189], v[76:77]
	v_add_f64 v[14:15], v[6:7], v[14:15]
	v_mul_f64 v[6:7], v[84:85], 0.5
	v_fma_f64 v[72:73], v[8:9], 0.5, v[94:95]
	v_fma_f64 v[94:95], v[12:13], -0.5, v[100:101]
	v_add_f64 v[21:22], v[2:3], v[21:22]
	v_fma_f64 v[102:103], v[12:13], s[4:5], v[10:11]
	v_add_f64 v[0:1], v[68:69], v[16:17]
	v_add_f64 v[92:93], v[27:28], v[82:83]
	v_add_f64 v[12:13], v[68:69], -v[16:17]
	v_add_f64 v[16:17], v[70:71], v[86:87]
	v_fma_f64 v[23:24], v[108:109], v[220:221], v[23:24]
	v_fma_f64 v[84:85], v[4:5], s[4:5], v[96:97]
	;; [unrolled: 1-line block ×4, first 2 shown]
	v_add_f64 v[4:5], v[98:99], v[72:73]
	v_add_f64 v[8:9], v[78:79], v[94:95]
	;; [unrolled: 1-line block ×3, first 2 shown]
	v_add_f64 v[68:69], v[98:99], -v[72:73]
	v_add_f64 v[72:73], v[78:79], -v[94:95]
	v_fma_f64 v[78:79], v[92:93], -0.5, v[180:181]
	v_add_f64 v[92:93], v[29:30], -v[74:75]
	v_add_f64 v[94:95], v[80:81], v[76:77]
	v_add_f64 v[14:15], v[14:15], -v[21:22]
	v_fma_f64 v[16:17], v[16:17], -0.5, v[25:26]
	v_add_f64 v[21:22], v[80:81], -v[76:77]
	v_add_f64 v[98:99], v[180:181], v[27:28]
	v_add_f64 v[104:105], v[182:183], v[29:30]
	;; [unrolled: 1-line block ×3, first 2 shown]
	v_fma_f64 v[106:107], v[92:93], s[0:1], v[78:79]
	v_fma_f64 v[94:95], v[94:95], -0.5, v[23:24]
	v_add_f64 v[108:109], v[70:71], -v[86:87]
	v_fma_f64 v[110:111], v[92:93], s[4:5], v[78:79]
	v_fma_f64 v[78:79], v[21:22], s[4:5], v[16:17]
	;; [unrolled: 1-line block ×3, first 2 shown]
	v_add_f64 v[23:24], v[23:24], v[80:81]
	v_add_f64 v[25:26], v[25:26], v[70:71]
	;; [unrolled: 1-line block ×4, first 2 shown]
	v_fma_f64 v[29:30], v[29:30], -0.5, v[182:183]
	v_add_f64 v[27:28], v[27:28], -v[82:83]
	v_fma_f64 v[74:75], v[108:109], s[0:1], v[94:95]
	v_mul_f64 v[82:83], v[78:79], s[0:1]
	v_mul_f64 v[70:71], v[78:79], 0.5
	v_fma_f64 v[80:81], v[108:109], s[4:5], v[94:95]
	v_mul_f64 v[92:93], v[16:17], s[0:1]
	v_mul_f64 v[16:17], v[16:17], -0.5
	v_add_f64 v[23:24], v[23:24], v[76:77]
	v_add_f64 v[25:26], v[25:26], v[86:87]
	v_fma_f64 v[104:105], v[27:28], s[4:5], v[29:30]
	v_fma_f64 v[27:28], v[27:28], s[0:1], v[29:30]
	v_fma_f64 v[29:30], v[74:75], 0.5, v[82:83]
	v_fma_f64 v[108:109], v[74:75], s[4:5], v[70:71]
	v_fma_f64 v[94:95], v[80:81], -0.5, v[92:93]
	v_fma_f64 v[16:17], v[80:81], s[4:5], v[16:17]
	v_add_f64 v[6:7], v[84:85], v[100:101]
	v_add_f64 v[10:11], v[96:97], v[102:103]
	v_add_f64 v[70:71], v[84:85], -v[100:101]
	v_add_f64 v[74:75], v[96:97], -v[102:103]
	v_add_f64 v[76:77], v[98:99], v[23:24]
	v_add_f64 v[78:79], v[21:22], v[25:26]
	v_add_f64 v[80:81], v[106:107], v[29:30]
	v_add_f64 v[82:83], v[104:105], v[108:109]
	v_add_f64 v[84:85], v[110:111], v[94:95]
	v_add_f64 v[86:87], v[27:28], v[16:17]
	v_add_f64 v[92:93], v[98:99], -v[23:24]
	v_add_f64 v[96:97], v[106:107], -v[29:30]
	;; [unrolled: 1-line block ×6, first 2 shown]
	s_barrier
	ds_write_b128 v18, v[0:3]
	ds_write_b128 v18, v[4:7] offset:208
	ds_write_b128 v18, v[8:11] offset:416
	;; [unrolled: 1-line block ×5, first 2 shown]
	ds_write_b128 v20, v[76:79]
	ds_write_b128 v20, v[80:83] offset:208
	ds_write_b128 v20, v[84:87] offset:416
	;; [unrolled: 1-line block ×5, first 2 shown]
	s_and_saveexec_b64 s[6:7], vcc
	s_cbranch_execz .LBB0_9
; %bb.8:
	v_mul_f64 v[2:3], v[58:59], v[140:141]
	v_mul_f64 v[4:5], v[90:91], v[152:153]
	;; [unrolled: 1-line block ×8, first 2 shown]
	v_fma_f64 v[2:3], v[56:57], v[142:143], -v[2:3]
	v_fma_f64 v[4:5], v[88:89], v[154:155], -v[4:5]
	v_fma_f64 v[10:11], v[56:57], v[140:141], v[10:11]
	v_fma_f64 v[12:13], v[88:89], v[152:153], v[12:13]
	v_fma_f64 v[14:15], v[64:65], v[114:115], -v[14:15]
	v_mul_f64 v[8:9], v[62:63], v[118:119]
	v_fma_f64 v[0:1], v[60:61], v[118:119], -v[0:1]
	v_mul_f64 v[16:17], v[54:55], v[150:151]
	v_fma_f64 v[6:7], v[52:53], v[150:151], -v[6:7]
	v_add_f64 v[22:23], v[2:3], v[4:5]
	v_fma_f64 v[20:21], v[64:65], v[112:113], v[20:21]
	v_add_f64 v[26:27], v[10:11], v[12:13]
	v_add_f64 v[28:29], v[10:11], -v[12:13]
	v_fma_f64 v[8:9], v[60:61], v[116:117], v[8:9]
	v_add_f64 v[54:55], v[186:187], v[0:1]
	v_fma_f64 v[16:17], v[52:53], v[148:149], v[16:17]
	v_add_f64 v[24:25], v[0:1], v[6:7]
	v_fma_f64 v[22:23], v[22:23], -0.5, v[14:15]
	v_add_f64 v[52:53], v[2:3], -v[4:5]
	v_fma_f64 v[26:27], v[26:27], -0.5, v[20:21]
	v_add_f64 v[2:3], v[14:15], v[2:3]
	v_add_f64 v[0:1], v[0:1], -v[6:7]
	v_add_f64 v[10:11], v[20:21], v[10:11]
	v_add_f64 v[30:31], v[8:9], -v[16:17]
	v_add_f64 v[14:15], v[8:9], v[16:17]
	v_fma_f64 v[56:57], v[28:29], s[0:1], v[22:23]
	v_fma_f64 v[22:23], v[28:29], s[4:5], v[22:23]
	v_add_f64 v[8:9], v[184:185], v[8:9]
	v_fma_f64 v[20:21], v[24:25], -0.5, v[186:187]
	v_add_f64 v[24:25], v[54:55], v[6:7]
	v_fma_f64 v[6:7], v[52:53], s[4:5], v[26:27]
	v_fma_f64 v[26:27], v[52:53], s[0:1], v[26:27]
	v_add_f64 v[4:5], v[2:3], v[4:5]
	v_mul_f64 v[28:29], v[56:57], -0.5
	v_mul_f64 v[52:53], v[22:23], 0.5
	v_fma_f64 v[2:3], v[14:15], -0.5, v[184:185]
	v_fma_f64 v[14:15], v[30:31], s[0:1], v[20:21]
	v_fma_f64 v[20:21], v[30:31], s[4:5], v[20:21]
	v_mul_f64 v[30:31], v[56:57], s[0:1]
	v_mul_f64 v[22:23], v[22:23], s[0:1]
	v_add_f64 v[8:9], v[8:9], v[16:17]
	v_add_f64 v[16:17], v[10:11], v[12:13]
	v_fma_f64 v[52:53], v[26:27], s[4:5], v[52:53]
	v_fma_f64 v[28:29], v[6:7], s[4:5], v[28:29]
	;; [unrolled: 1-line block ×4, first 2 shown]
	v_fma_f64 v[30:31], v[6:7], -0.5, v[30:31]
	v_fma_f64 v[26:27], v[26:27], 0.5, v[22:23]
	v_add_f64 v[54:55], v[24:25], v[4:5]
	v_add_f64 v[10:11], v[24:25], -v[4:5]
	v_add_f64 v[6:7], v[20:21], -v[52:53]
	v_add_f64 v[22:23], v[20:21], v[52:53]
	v_add_f64 v[52:53], v[8:9], v[16:17]
	v_add_f64 v[8:9], v[8:9], -v[16:17]
	buffer_load_dword v16, off, s[48:51], 0 offset:144 ; 4-byte Folded Reload
	buffer_load_dword v17, off, s[48:51], 0 ; 4-byte Folded Reload
	v_add_f64 v[20:21], v[0:1], v[26:27]
	v_add_f64 v[2:3], v[14:15], -v[28:29]
	v_add_f64 v[14:15], v[14:15], v[28:29]
	v_add_f64 v[12:13], v[56:57], v[30:31]
	v_add_f64 v[4:5], v[0:1], -v[26:27]
	v_add_f64 v[0:1], v[56:57], -v[30:31]
	s_waitcnt vmcnt(1)
	v_and_b32_e32 v16, 0xff, v16
	s_waitcnt vmcnt(0)
	v_lshl_add_u32 v16, v16, 4, v17
	ds_write_b128 v16, v[52:55] offset:14976
	ds_write_b128 v16, v[20:23] offset:15184
	;; [unrolled: 1-line block ×6, first 2 shown]
.LBB0_9:
	s_or_b64 exec, exec, s[6:7]
	s_waitcnt lgkmcnt(0)
	s_barrier
	ds_read_b128 v[0:3], v19 offset:1248
	ds_read_b128 v[4:7], v19 offset:2496
	ds_read_b128 v[20:23], v19
	ds_read_b128 v[8:11], v19 offset:3744
	s_mov_b32 s0, 0xe00740e9
	s_mov_b32 s1, 0x3fec55a7
	s_waitcnt lgkmcnt(2)
	v_mul_f64 v[16:17], v[146:147], v[6:7]
	v_mul_f64 v[12:13], v[162:163], v[2:3]
	;; [unrolled: 1-line block ×3, first 2 shown]
	s_waitcnt lgkmcnt(0)
	v_mul_f64 v[30:31], v[134:135], v[10:11]
	v_mul_f64 v[24:25], v[146:147], v[4:5]
	v_mul_f64 v[56:57], v[134:135], v[8:9]
	s_mov_b32 s6, 0x4267c47c
	s_mov_b32 s7, 0xbfddbe06
	v_fma_f64 v[16:17], v[144:145], v[4:5], v[16:17]
	v_fma_f64 v[26:27], v[160:161], v[0:1], v[12:13]
	v_fma_f64 v[28:29], v[160:161], v[2:3], -v[14:15]
	ds_read_b128 v[0:3], v19 offset:4992
	ds_read_b128 v[12:15], v19 offset:6240
	v_fma_f64 v[30:31], v[132:133], v[8:9], v[30:31]
	v_fma_f64 v[24:25], v[144:145], v[6:7], -v[24:25]
	ds_read_b128 v[4:7], v19 offset:7488
	ds_read_b128 v[52:55], v19 offset:8736
	s_waitcnt lgkmcnt(3)
	v_mul_f64 v[64:65], v[130:131], v[2:3]
	v_mul_f64 v[66:67], v[130:131], v[0:1]
	v_add_f64 v[58:59], v[20:21], v[26:27]
	v_add_f64 v[60:61], v[22:23], v[28:29]
	s_waitcnt lgkmcnt(2)
	v_mul_f64 v[78:79], v[174:175], v[14:15]
	v_fma_f64 v[76:77], v[132:133], v[10:11], -v[56:57]
	v_mul_f64 v[80:81], v[174:175], v[12:13]
	s_waitcnt lgkmcnt(1)
	v_mul_f64 v[86:87], v[138:139], v[6:7]
	v_fma_f64 v[82:83], v[128:129], v[0:1], v[64:65]
	v_fma_f64 v[84:85], v[128:129], v[2:3], -v[66:67]
	v_add_f64 v[8:9], v[58:59], v[16:17]
	v_add_f64 v[10:11], v[60:61], v[24:25]
	ds_read_b128 v[56:59], v19 offset:9984
	ds_read_b128 v[60:63], v19 offset:11232
	v_mul_f64 v[88:89], v[138:139], v[4:5]
	ds_read_b128 v[64:67], v19 offset:12480
	ds_read_b128 v[68:71], v19 offset:13728
	;; [unrolled: 1-line block ×3, first 2 shown]
	s_mov_b32 s25, 0x3fddbe06
	s_mov_b32 s24, s6
	s_waitcnt lgkmcnt(2)
	v_mul_f64 v[92:93], v[166:167], v[66:67]
	v_add_f64 v[0:1], v[8:9], v[30:31]
	v_fma_f64 v[8:9], v[172:173], v[12:13], v[78:79]
	v_add_f64 v[2:3], v[10:11], v[76:77]
	v_mul_f64 v[78:79], v[126:127], v[54:55]
	v_fma_f64 v[10:11], v[172:173], v[14:15], -v[80:81]
	v_mul_f64 v[80:81], v[126:127], v[52:53]
	s_waitcnt lgkmcnt(0)
	v_mul_f64 v[90:91], v[170:171], v[72:73]
	s_mov_b32 s18, 0x1ea71119
	v_add_f64 v[12:13], v[0:1], v[82:83]
	v_fma_f64 v[0:1], v[136:137], v[4:5], v[86:87]
	v_add_f64 v[14:15], v[2:3], v[84:85]
	v_mul_f64 v[86:87], v[122:123], v[58:59]
	v_fma_f64 v[4:5], v[124:125], v[52:53], v[78:79]
	v_fma_f64 v[2:3], v[136:137], v[6:7], -v[88:89]
	v_mul_f64 v[78:79], v[178:179], v[62:63]
	v_mul_f64 v[88:89], v[122:123], v[56:57]
	v_add_f64 v[12:13], v[12:13], v[8:9]
	v_fma_f64 v[6:7], v[124:125], v[54:55], -v[80:81]
	v_add_f64 v[14:15], v[14:15], v[10:11]
	v_mul_f64 v[80:81], v[178:179], v[60:61]
	s_mov_b32 s12, 0xebaa3ed8
	s_mov_b32 s26, 0xb2365da1
	v_fma_f64 v[60:61], v[176:177], v[60:61], v[78:79]
	s_mov_b32 s30, 0x24c2f84
	v_add_f64 v[52:53], v[12:13], v[0:1]
	v_fma_f64 v[12:13], v[120:121], v[56:57], v[86:87]
	v_add_f64 v[54:55], v[14:15], v[2:3]
	v_mul_f64 v[56:57], v[170:171], v[74:75]
	v_fma_f64 v[74:75], v[168:169], v[74:75], -v[90:91]
	v_fma_f64 v[14:15], v[120:121], v[58:59], -v[88:89]
	v_mul_f64 v[58:59], v[166:167], v[64:65]
	v_mul_f64 v[86:87], v[158:159], v[70:71]
	v_add_f64 v[52:53], v[52:53], v[4:5]
	v_fma_f64 v[64:65], v[164:165], v[64:65], v[92:93]
	v_add_f64 v[54:55], v[54:55], v[6:7]
	v_fma_f64 v[56:57], v[168:169], v[72:73], v[56:57]
	v_add_f64 v[78:79], v[28:29], -v[74:75]
	v_add_f64 v[28:29], v[28:29], v[74:75]
	v_fma_f64 v[62:63], v[176:177], v[62:63], -v[80:81]
	v_mul_f64 v[72:73], v[158:159], v[68:69]
	v_add_f64 v[52:53], v[52:53], v[12:13]
	v_fma_f64 v[58:59], v[164:165], v[66:67], -v[58:59]
	v_add_f64 v[54:55], v[54:55], v[14:15]
	v_add_f64 v[66:67], v[26:27], v[56:57]
	v_add_f64 v[26:27], v[26:27], -v[56:57]
	v_mul_f64 v[88:89], v[28:29], s[0:1]
	v_fma_f64 v[68:69], v[156:157], v[68:69], v[86:87]
	v_fma_f64 v[70:71], v[156:157], v[70:71], -v[72:73]
	v_add_f64 v[52:53], v[52:53], v[60:61]
	s_mov_b32 s34, 0xd0032e0c
	v_add_f64 v[54:55], v[54:55], v[62:63]
	s_mov_b32 s40, 0x93053d00
	s_mov_b32 s19, 0x3fe22d96
	v_fma_f64 v[86:87], v[26:27], s[24:25], v[88:89]
	v_fma_f64 v[88:89], v[26:27], s[6:7], v[88:89]
	s_mov_b32 s13, 0x3fbedb7d
	v_add_f64 v[52:53], v[52:53], v[64:65]
	s_mov_b32 s27, 0xbfd6b1d8
	s_mov_b32 s31, 0xbfe5384d
	;; [unrolled: 1-line block ×4, first 2 shown]
	v_mul_f64 v[80:81], v[78:79], s[6:7]
	v_add_f64 v[54:55], v[54:55], v[58:59]
	v_mul_f64 v[94:95], v[28:29], s[12:13]
	v_add_f64 v[52:53], v[52:53], v[68:69]
	v_mul_f64 v[106:107], v[28:29], s[26:27]
	v_mul_f64 v[108:109], v[78:79], s[30:31]
	v_mul_f64 v[110:111], v[28:29], s[34:35]
	v_add_f64 v[118:119], v[24:25], v[70:71]
	v_add_f64 v[24:25], v[24:25], -v[70:71]
	s_mov_b32 s16, 0x42a4c3d2
	s_mov_b32 s4, 0x66966769
	v_add_f64 v[52:53], v[52:53], v[56:57]
	v_add_f64 v[56:57], v[22:23], v[88:89]
	v_mul_f64 v[88:89], v[28:29], s[18:19]
	v_mul_f64 v[28:29], v[28:29], s[40:41]
	s_mov_b32 s22, 0x2ef20147
	s_mov_b32 s38, 0x4bc48dbf
	;; [unrolled: 1-line block ×15, first 2 shown]
	v_fma_f64 v[72:73], v[66:67], s[0:1], v[80:81]
	v_add_f64 v[54:55], v[54:55], v[70:71]
	v_mul_f64 v[90:91], v[78:79], s[16:17]
	v_mul_f64 v[92:93], v[78:79], s[4:5]
	v_fma_f64 v[96:97], v[26:27], s[20:21], v[88:89]
	v_fma_f64 v[88:89], v[26:27], s[16:17], v[88:89]
	;; [unrolled: 1-line block ×3, first 2 shown]
	v_mul_f64 v[102:103], v[78:79], s[22:23]
	v_fma_f64 v[94:95], v[26:27], s[4:5], v[94:95]
	v_fma_f64 v[112:113], v[26:27], s[28:29], v[106:107]
	;; [unrolled: 1-line block ×5, first 2 shown]
	v_mul_f64 v[78:79], v[78:79], s[38:39]
	v_fma_f64 v[108:109], v[66:67], s[34:35], -v[108:109]
	v_fma_f64 v[110:111], v[26:27], s[30:31], v[110:111]
	v_add_f64 v[120:121], v[16:17], v[68:69]
	v_add_f64 v[16:17], v[16:17], -v[68:69]
	v_mul_f64 v[68:69], v[24:25], s[16:17]
	v_mul_f64 v[122:123], v[118:119], s[18:19]
	v_fma_f64 v[124:125], v[26:27], s[42:43], v[28:29]
	v_fma_f64 v[26:27], v[26:27], s[38:39], v[28:29]
	v_fma_f64 v[80:81], v[66:67], s[0:1], -v[80:81]
	v_add_f64 v[72:73], v[20:21], v[72:73]
	v_add_f64 v[86:87], v[22:23], v[86:87]
	;; [unrolled: 1-line block ×3, first 2 shown]
	v_fma_f64 v[74:75], v[66:67], s[18:19], v[90:91]
	v_fma_f64 v[90:91], v[66:67], s[18:19], -v[90:91]
	v_fma_f64 v[98:99], v[66:67], s[12:13], v[92:93]
	v_add_f64 v[96:97], v[22:23], v[96:97]
	v_add_f64 v[88:89], v[22:23], v[88:89]
	v_add_f64 v[100:101], v[22:23], v[100:101]
	v_fma_f64 v[92:93], v[66:67], s[12:13], -v[92:93]
	v_fma_f64 v[104:105], v[66:67], s[26:27], v[102:103]
	v_fma_f64 v[102:103], v[66:67], s[26:27], -v[102:103]
	v_add_f64 v[94:95], v[22:23], v[94:95]
	v_add_f64 v[112:113], v[22:23], v[112:113]
	;; [unrolled: 1-line block ×4, first 2 shown]
	v_fma_f64 v[70:71], v[66:67], s[40:41], v[78:79]
	v_fma_f64 v[66:67], v[66:67], s[40:41], -v[78:79]
	v_add_f64 v[28:29], v[20:21], v[108:109]
	v_add_f64 v[78:79], v[22:23], v[110:111]
	v_fma_f64 v[108:109], v[120:121], s[18:19], v[68:69]
	v_fma_f64 v[110:111], v[16:17], s[20:21], v[122:123]
	v_add_f64 v[124:125], v[22:23], v[124:125]
	v_add_f64 v[22:23], v[22:23], v[26:27]
	v_mul_f64 v[26:27], v[24:25], s[22:23]
	v_add_f64 v[80:81], v[20:21], v[80:81]
	v_add_f64 v[74:75], v[20:21], v[74:75]
	v_add_f64 v[90:91], v[20:21], v[90:91]
	v_add_f64 v[98:99], v[20:21], v[98:99]
	v_add_f64 v[92:93], v[20:21], v[92:93]
	v_add_f64 v[104:105], v[20:21], v[104:105]
	v_add_f64 v[102:103], v[20:21], v[102:103]
	v_add_f64 v[114:115], v[20:21], v[114:115]
	v_add_f64 v[70:71], v[20:21], v[70:71]
	v_add_f64 v[20:21], v[20:21], v[66:67]
	v_mul_f64 v[66:67], v[118:119], s[26:27]
	v_add_f64 v[72:73], v[108:109], v[72:73]
	v_add_f64 v[86:87], v[110:111], v[86:87]
	v_fma_f64 v[68:69], v[120:121], s[18:19], -v[68:69]
	v_fma_f64 v[108:109], v[16:17], s[16:17], v[122:123]
	v_mul_f64 v[110:111], v[24:25], s[38:39]
	v_mul_f64 v[122:123], v[118:119], s[40:41]
	v_fma_f64 v[126:127], v[120:121], s[26:27], v[26:27]
	v_fma_f64 v[26:27], v[120:121], s[26:27], -v[26:27]
	v_fma_f64 v[128:129], v[16:17], s[28:29], v[66:67]
	v_fma_f64 v[66:67], v[16:17], s[22:23], v[66:67]
	v_add_f64 v[68:69], v[68:69], v[80:81]
	v_add_f64 v[56:57], v[108:109], v[56:57]
	v_fma_f64 v[80:81], v[120:121], s[40:41], v[110:111]
	v_fma_f64 v[108:109], v[16:17], s[42:43], v[122:123]
	v_fma_f64 v[110:111], v[120:121], s[40:41], -v[110:111]
	v_add_f64 v[26:27], v[26:27], v[90:91]
	v_mul_f64 v[90:91], v[118:119], s[34:35]
	v_add_f64 v[96:97], v[128:129], v[96:97]
	v_add_f64 v[66:67], v[66:67], v[88:89]
	v_mul_f64 v[88:89], v[24:25], s[36:37]
	v_add_f64 v[80:81], v[80:81], v[98:99]
	v_add_f64 v[98:99], v[108:109], v[100:101]
	v_mul_f64 v[100:101], v[24:25], s[14:15]
	v_mul_f64 v[108:109], v[118:119], s[12:13]
	v_fma_f64 v[128:129], v[16:17], s[30:31], v[90:91]
	v_add_f64 v[74:75], v[126:127], v[74:75]
	v_fma_f64 v[90:91], v[16:17], s[36:37], v[90:91]
	v_fma_f64 v[126:127], v[120:121], s[34:35], v[88:89]
	v_fma_f64 v[88:89], v[120:121], s[34:35], -v[88:89]
	v_add_f64 v[92:93], v[110:111], v[92:93]
	v_fma_f64 v[130:131], v[120:121], s[12:13], v[100:101]
	v_fma_f64 v[132:133], v[16:17], s[4:5], v[108:109]
	v_add_f64 v[110:111], v[128:129], v[112:113]
	v_add_f64 v[112:113], v[76:77], -v[58:59]
	v_add_f64 v[58:59], v[76:77], v[58:59]
	v_fma_f64 v[122:123], v[16:17], s[38:39], v[122:123]
	v_add_f64 v[88:89], v[88:89], v[102:103]
	v_add_f64 v[90:91], v[90:91], v[106:107]
	;; [unrolled: 1-line block ×4, first 2 shown]
	v_mul_f64 v[76:77], v[118:119], s[0:1]
	v_fma_f64 v[100:101], v[120:121], s[12:13], -v[100:101]
	v_fma_f64 v[108:109], v[16:17], s[14:15], v[108:109]
	v_add_f64 v[114:115], v[30:31], v[64:65]
	v_add_f64 v[30:31], v[30:31], -v[64:65]
	v_mul_f64 v[64:65], v[112:113], s[4:5]
	v_mul_f64 v[116:117], v[58:59], s[12:13]
	v_add_f64 v[94:95], v[122:123], v[94:95]
	v_mul_f64 v[24:25], v[24:25], s[24:25]
	v_fma_f64 v[122:123], v[16:17], s[6:7], v[76:77]
	v_fma_f64 v[16:17], v[16:17], s[24:25], v[76:77]
	v_add_f64 v[28:29], v[100:101], v[28:29]
	v_add_f64 v[76:77], v[108:109], v[78:79]
	v_fma_f64 v[78:79], v[114:115], s[12:13], v[64:65]
	v_fma_f64 v[100:101], v[30:31], s[14:15], v[116:117]
	v_fma_f64 v[64:65], v[114:115], s[12:13], -v[64:65]
	v_fma_f64 v[118:119], v[120:121], s[0:1], v[24:25]
	v_fma_f64 v[24:25], v[120:121], s[0:1], -v[24:25]
	v_add_f64 v[16:17], v[16:17], v[22:23]
	v_mul_f64 v[22:23], v[112:113], s[38:39]
	v_add_f64 v[108:109], v[122:123], v[124:125]
	v_add_f64 v[72:73], v[78:79], v[72:73]
	;; [unrolled: 1-line block ×3, first 2 shown]
	v_fma_f64 v[86:87], v[30:31], s[4:5], v[116:117]
	v_mul_f64 v[100:101], v[112:113], s[28:29]
	v_mul_f64 v[116:117], v[58:59], s[26:27]
	v_add_f64 v[70:71], v[118:119], v[70:71]
	v_add_f64 v[20:21], v[24:25], v[20:21]
	v_mul_f64 v[24:25], v[58:59], s[40:41]
	v_fma_f64 v[118:119], v[114:115], s[40:41], v[22:23]
	v_fma_f64 v[22:23], v[114:115], s[40:41], -v[22:23]
	v_add_f64 v[64:65], v[64:65], v[68:69]
	v_add_f64 v[56:57], v[86:87], v[56:57]
	v_fma_f64 v[68:69], v[114:115], s[26:27], v[100:101]
	v_fma_f64 v[86:87], v[30:31], s[22:23], v[116:117]
	v_add_f64 v[104:105], v[126:127], v[104:105]
	v_fma_f64 v[120:121], v[30:31], s[42:43], v[24:25]
	v_fma_f64 v[24:25], v[30:31], s[38:39], v[24:25]
	v_add_f64 v[22:23], v[22:23], v[26:27]
	v_mul_f64 v[26:27], v[112:113], s[24:25]
	v_add_f64 v[74:75], v[118:119], v[74:75]
	v_add_f64 v[68:69], v[68:69], v[80:81]
	;; [unrolled: 1-line block ×3, first 2 shown]
	v_mul_f64 v[86:87], v[112:113], s[16:17]
	v_mul_f64 v[98:99], v[58:59], s[18:19]
	v_add_f64 v[24:25], v[24:25], v[66:67]
	v_mul_f64 v[66:67], v[58:59], s[0:1]
	v_fma_f64 v[118:119], v[114:115], s[0:1], v[26:27]
	v_fma_f64 v[26:27], v[114:115], s[0:1], -v[26:27]
	v_add_f64 v[96:97], v[120:121], v[96:97]
	v_fma_f64 v[100:101], v[114:115], s[26:27], -v[100:101]
	v_fma_f64 v[122:123], v[114:115], s[18:19], v[86:87]
	v_fma_f64 v[124:125], v[30:31], s[20:21], v[98:99]
	;; [unrolled: 1-line block ×5, first 2 shown]
	v_add_f64 v[26:27], v[26:27], v[88:89]
	v_mul_f64 v[58:59], v[58:59], s[34:35]
	v_add_f64 v[92:93], v[100:101], v[92:93]
	v_add_f64 v[88:89], v[122:123], v[102:103]
	v_add_f64 v[102:103], v[84:85], -v[62:63]
	v_add_f64 v[62:63], v[84:85], v[62:63]
	v_add_f64 v[100:101], v[118:119], v[104:105]
	;; [unrolled: 1-line block ×5, first 2 shown]
	v_mul_f64 v[84:85], v[112:113], s[30:31]
	v_fma_f64 v[86:87], v[114:115], s[18:19], -v[86:87]
	v_fma_f64 v[98:99], v[30:31], s[16:17], v[98:99]
	v_add_f64 v[106:107], v[82:83], v[60:61]
	v_add_f64 v[60:61], v[82:83], -v[60:61]
	v_mul_f64 v[82:83], v[102:103], s[22:23]
	v_mul_f64 v[110:111], v[62:63], s[26:27]
	v_add_f64 v[94:95], v[116:117], v[94:95]
	v_fma_f64 v[112:113], v[114:115], s[34:35], v[84:85]
	v_fma_f64 v[116:117], v[30:31], s[36:37], v[58:59]
	v_fma_f64 v[84:85], v[114:115], s[34:35], -v[84:85]
	v_fma_f64 v[30:31], v[30:31], s[30:31], v[58:59]
	v_add_f64 v[28:29], v[86:87], v[28:29]
	v_add_f64 v[58:59], v[98:99], v[76:77]
	v_fma_f64 v[76:77], v[106:107], s[26:27], v[82:83]
	v_fma_f64 v[86:87], v[60:61], s[28:29], v[110:111]
	v_add_f64 v[70:71], v[112:113], v[70:71]
	v_add_f64 v[98:99], v[116:117], v[108:109]
	;; [unrolled: 1-line block ×4, first 2 shown]
	v_mul_f64 v[30:31], v[102:103], s[36:37]
	v_mul_f64 v[84:85], v[62:63], s[34:35]
	v_add_f64 v[72:73], v[76:77], v[72:73]
	v_add_f64 v[76:77], v[86:87], v[78:79]
	v_fma_f64 v[78:79], v[106:107], s[26:27], -v[82:83]
	v_fma_f64 v[82:83], v[60:61], s[22:23], v[110:111]
	v_mul_f64 v[86:87], v[102:103], s[24:25]
	v_mul_f64 v[108:109], v[62:63], s[0:1]
	v_fma_f64 v[110:111], v[106:107], s[34:35], v[30:31]
	v_fma_f64 v[112:113], v[60:61], s[30:31], v[84:85]
	v_fma_f64 v[30:31], v[106:107], s[34:35], -v[30:31]
	v_fma_f64 v[84:85], v[60:61], s[36:37], v[84:85]
	v_add_f64 v[64:65], v[78:79], v[64:65]
	v_add_f64 v[56:57], v[82:83], v[56:57]
	v_fma_f64 v[78:79], v[106:107], s[0:1], v[86:87]
	v_fma_f64 v[82:83], v[60:61], s[6:7], v[108:109]
	v_add_f64 v[74:75], v[110:111], v[74:75]
	v_add_f64 v[96:97], v[112:113], v[96:97]
	;; [unrolled: 1-line block ×4, first 2 shown]
	v_mul_f64 v[30:31], v[102:103], s[4:5]
	v_mul_f64 v[84:85], v[62:63], s[12:13]
	v_add_f64 v[68:69], v[78:79], v[68:69]
	v_add_f64 v[78:79], v[82:83], v[80:81]
	v_fma_f64 v[80:81], v[106:107], s[0:1], -v[86:87]
	v_fma_f64 v[82:83], v[60:61], s[24:25], v[108:109]
	v_mul_f64 v[86:87], v[102:103], s[42:43]
	v_mul_f64 v[108:109], v[62:63], s[40:41]
	v_fma_f64 v[110:111], v[106:107], s[12:13], v[30:31]
	v_fma_f64 v[112:113], v[60:61], s[14:15], v[84:85]
	v_fma_f64 v[30:31], v[106:107], s[12:13], -v[30:31]
	v_fma_f64 v[84:85], v[60:61], s[4:5], v[84:85]
	v_add_f64 v[80:81], v[80:81], v[92:93]
	v_add_f64 v[82:83], v[82:83], v[94:95]
	v_fma_f64 v[92:93], v[106:107], s[40:41], v[86:87]
	v_fma_f64 v[94:95], v[60:61], s[38:39], v[108:109]
	v_mul_f64 v[62:63], v[62:63], s[18:19]
	v_add_f64 v[100:101], v[110:111], v[100:101]
	v_add_f64 v[26:27], v[30:31], v[26:27]
	v_add_f64 v[30:31], v[84:85], v[66:67]
	v_mul_f64 v[66:67], v[102:103], s[20:21]
	v_add_f64 v[102:103], v[8:9], v[12:13]
	v_add_f64 v[84:85], v[92:93], v[88:89]
	;; [unrolled: 1-line block ×3, first 2 shown]
	v_add_f64 v[90:91], v[10:11], -v[14:15]
	v_add_f64 v[10:11], v[10:11], v[14:15]
	v_fma_f64 v[14:15], v[106:107], s[40:41], -v[86:87]
	v_fma_f64 v[86:87], v[60:61], s[42:43], v[108:109]
	v_fma_f64 v[92:93], v[106:107], s[18:19], v[66:67]
	v_add_f64 v[8:9], v[8:9], -v[12:13]
	v_fma_f64 v[94:95], v[60:61], s[16:17], v[62:63]
	v_fma_f64 v[66:67], v[106:107], s[18:19], -v[66:67]
	v_mul_f64 v[12:13], v[90:91], s[30:31]
	v_mul_f64 v[108:109], v[10:11], s[34:35]
	v_fma_f64 v[60:61], v[60:61], s[20:21], v[62:63]
	v_add_f64 v[14:15], v[14:15], v[28:29]
	v_add_f64 v[28:29], v[86:87], v[58:59]
	;; [unrolled: 1-line block ×5, first 2 shown]
	v_fma_f64 v[70:71], v[102:103], s[34:35], v[12:13]
	v_fma_f64 v[86:87], v[8:9], s[36:37], v[108:109]
	v_add_f64 v[16:17], v[60:61], v[16:17]
	v_mul_f64 v[60:61], v[90:91], s[14:15]
	v_mul_f64 v[66:67], v[10:11], s[12:13]
	v_fma_f64 v[12:13], v[102:103], s[34:35], -v[12:13]
	v_fma_f64 v[92:93], v[8:9], s[30:31], v[108:109]
	v_add_f64 v[104:105], v[112:113], v[104:105]
	v_add_f64 v[70:71], v[70:71], v[72:73]
	;; [unrolled: 1-line block ×3, first 2 shown]
	v_mul_f64 v[76:77], v[90:91], s[16:17]
	v_mul_f64 v[86:87], v[10:11], s[18:19]
	v_fma_f64 v[94:95], v[102:103], s[12:13], v[60:61]
	v_fma_f64 v[98:99], v[8:9], s[4:5], v[66:67]
	v_add_f64 v[12:13], v[12:13], v[64:65]
	v_add_f64 v[56:57], v[92:93], v[56:57]
	v_fma_f64 v[60:61], v[102:103], s[12:13], -v[60:61]
	v_fma_f64 v[64:65], v[8:9], s[14:15], v[66:67]
	v_fma_f64 v[66:67], v[102:103], s[18:19], v[76:77]
	;; [unrolled: 1-line block ×3, first 2 shown]
	v_add_f64 v[74:75], v[94:95], v[74:75]
	v_add_f64 v[94:95], v[98:99], v[96:97]
	v_mul_f64 v[96:97], v[90:91], s[42:43]
	v_mul_f64 v[98:99], v[10:11], s[40:41]
	v_add_f64 v[22:23], v[60:61], v[22:23]
	v_add_f64 v[24:25], v[64:65], v[24:25]
	v_add_f64 v[60:61], v[66:67], v[68:69]
	v_add_f64 v[64:65], v[92:93], v[78:79]
	v_fma_f64 v[66:67], v[102:103], s[18:19], -v[76:77]
	v_fma_f64 v[68:69], v[8:9], s[16:17], v[86:87]
	v_mul_f64 v[86:87], v[90:91], s[24:25]
	v_mul_f64 v[92:93], v[10:11], s[0:1]
	v_mul_f64 v[90:91], v[90:91], s[22:23]
	v_fma_f64 v[76:77], v[102:103], s[40:41], v[96:97]
	v_fma_f64 v[96:97], v[102:103], s[40:41], -v[96:97]
	v_mul_f64 v[10:11], v[10:11], s[26:27]
	v_add_f64 v[66:67], v[66:67], v[80:81]
	v_add_f64 v[68:69], v[68:69], v[82:83]
	v_fma_f64 v[80:81], v[102:103], s[0:1], v[86:87]
	v_fma_f64 v[82:83], v[8:9], s[6:7], v[92:93]
	;; [unrolled: 1-line block ×3, first 2 shown]
	v_fma_f64 v[86:87], v[102:103], s[0:1], -v[86:87]
	v_fma_f64 v[78:79], v[8:9], s[38:39], v[98:99]
	v_fma_f64 v[98:99], v[8:9], s[42:43], v[98:99]
	v_add_f64 v[26:27], v[96:97], v[26:27]
	v_add_f64 v[96:97], v[0:1], -v[4:5]
	v_add_f64 v[80:81], v[80:81], v[84:85]
	v_add_f64 v[82:83], v[82:83], v[88:89]
	v_add_f64 v[84:85], v[2:3], -v[6:7]
	v_add_f64 v[88:89], v[2:3], v[6:7]
	v_fma_f64 v[2:3], v[102:103], s[26:27], v[90:91]
	v_add_f64 v[28:29], v[92:93], v[28:29]
	v_fma_f64 v[6:7], v[8:9], s[28:29], v[10:11]
	v_add_f64 v[92:93], v[0:1], v[4:5]
	v_add_f64 v[86:87], v[86:87], v[14:15]
	v_fma_f64 v[14:15], v[102:103], s[26:27], -v[90:91]
	v_mul_f64 v[0:1], v[84:85], s[38:39]
	v_mul_f64 v[4:5], v[88:89], s[40:41]
	v_fma_f64 v[8:9], v[8:9], s[22:23], v[10:11]
	v_add_f64 v[90:91], v[2:3], v[58:59]
	v_mul_f64 v[58:59], v[84:85], s[24:25]
	v_add_f64 v[30:31], v[98:99], v[30:31]
	v_add_f64 v[98:99], v[6:7], v[62:63]
	v_mul_f64 v[62:63], v[88:89], s[0:1]
	v_fma_f64 v[2:3], v[92:93], s[40:41], v[0:1]
	v_fma_f64 v[6:7], v[96:97], s[42:43], v[4:5]
	v_add_f64 v[76:77], v[76:77], v[100:101]
	v_add_f64 v[100:101], v[14:15], v[20:21]
	v_add_f64 v[16:17], v[8:9], v[16:17]
	v_fma_f64 v[8:9], v[92:93], s[40:41], -v[0:1]
	v_fma_f64 v[14:15], v[92:93], s[0:1], v[58:59]
	v_fma_f64 v[10:11], v[96:97], s[38:39], v[4:5]
	;; [unrolled: 1-line block ×3, first 2 shown]
	v_add_f64 v[0:1], v[2:3], v[70:71]
	v_add_f64 v[2:3], v[6:7], v[72:73]
	v_mul_f64 v[70:71], v[84:85], s[30:31]
	v_mul_f64 v[72:73], v[88:89], s[34:35]
	v_add_f64 v[4:5], v[8:9], v[12:13]
	v_add_f64 v[8:9], v[14:15], v[74:75]
	v_fma_f64 v[14:15], v[96:97], s[24:25], v[62:63]
	v_mul_f64 v[62:63], v[84:85], s[20:21]
	v_add_f64 v[6:7], v[10:11], v[56:57]
	v_add_f64 v[10:11], v[20:21], v[94:95]
	v_fma_f64 v[12:13], v[92:93], s[0:1], -v[58:59]
	v_fma_f64 v[20:21], v[92:93], s[34:35], v[70:71]
	v_fma_f64 v[56:57], v[96:97], s[36:37], v[72:73]
	v_mul_f64 v[74:75], v[88:89], s[18:19]
	v_fma_f64 v[58:59], v[92:93], s[34:35], -v[70:71]
	v_fma_f64 v[70:71], v[96:97], s[30:31], v[72:73]
	v_add_f64 v[14:15], v[14:15], v[24:25]
	v_fma_f64 v[24:25], v[92:93], s[18:19], v[62:63]
	v_add_f64 v[78:79], v[78:79], v[104:105]
	v_add_f64 v[12:13], v[12:13], v[22:23]
	;; [unrolled: 1-line block ×3, first 2 shown]
	v_fma_f64 v[64:65], v[96:97], s[16:17], v[74:75]
	v_add_f64 v[56:57], v[58:59], v[66:67]
	v_add_f64 v[58:59], v[70:71], v[68:69]
	v_fma_f64 v[66:67], v[92:93], s[18:19], -v[62:63]
	v_fma_f64 v[68:69], v[96:97], s[20:21], v[74:75]
	v_mul_f64 v[70:71], v[84:85], s[22:23]
	v_mul_f64 v[72:73], v[88:89], s[26:27]
	v_add_f64 v[20:21], v[20:21], v[60:61]
	v_add_f64 v[60:61], v[24:25], v[76:77]
	v_mul_f64 v[24:25], v[84:85], s[14:15]
	v_mul_f64 v[74:75], v[88:89], s[12:13]
	v_add_f64 v[62:63], v[64:65], v[78:79]
	v_add_f64 v[64:65], v[66:67], v[26:27]
	;; [unrolled: 1-line block ×3, first 2 shown]
	v_fma_f64 v[26:27], v[92:93], s[26:27], v[70:71]
	v_fma_f64 v[30:31], v[96:97], s[28:29], v[72:73]
	v_fma_f64 v[76:77], v[92:93], s[26:27], -v[70:71]
	v_fma_f64 v[78:79], v[96:97], s[22:23], v[72:73]
	v_fma_f64 v[84:85], v[92:93], s[12:13], v[24:25]
	;; [unrolled: 1-line block ×3, first 2 shown]
	v_fma_f64 v[24:25], v[92:93], s[12:13], -v[24:25]
	v_fma_f64 v[92:93], v[96:97], s[14:15], v[74:75]
	v_add_f64 v[68:69], v[26:27], v[80:81]
	v_add_f64 v[70:71], v[30:31], v[82:83]
	v_add_f64 v[72:73], v[76:77], v[86:87]
	v_add_f64 v[74:75], v[78:79], v[28:29]
	v_add_f64 v[76:77], v[84:85], v[90:91]
	v_add_f64 v[78:79], v[88:89], v[98:99]
	v_add_f64 v[80:81], v[24:25], v[100:101]
	v_add_f64 v[82:83], v[92:93], v[16:17]
	ds_write_b128 v19, v[52:55]
	ds_write_b128 v19, v[0:3] offset:1248
	ds_write_b128 v19, v[8:11] offset:2496
	;; [unrolled: 1-line block ×12, first 2 shown]
	s_waitcnt lgkmcnt(0)
	s_barrier
	ds_read_b128 v[0:3], v19
	buffer_load_dword v4, off, s[48:51], 0 offset:4 ; 4-byte Folded Reload
	buffer_load_dword v5, off, s[48:51], 0 offset:8 ; 4-byte Folded Reload
	;; [unrolled: 1-line block ×3, first 2 shown]
	s_waitcnt lgkmcnt(0)
	v_mul_f64 v[10:11], v[50:51], v[2:3]
	v_mul_f64 v[12:13], v[50:51], v[0:1]
	v_fma_f64 v[0:1], v[48:49], v[0:1], v[10:11]
	v_fma_f64 v[2:3], v[48:49], v[2:3], -v[12:13]
	s_waitcnt vmcnt(2)
	v_mov_b32_e32 v14, v4
	s_waitcnt vmcnt(1)
	ds_read_b128 v[4:7], v19 offset:1248
	buffer_load_dword v20, off, s[48:51], 0 offset:128 ; 4-byte Folded Reload
	buffer_load_dword v21, off, s[48:51], 0 offset:132 ; 4-byte Folded Reload
	;; [unrolled: 1-line block ×4, first 2 shown]
	v_mad_u64_u32 v[8:9], s[0:1], s10, v14, 0
	v_mad_u64_u32 v[14:15], s[0:1], s11, v14, v[9:10]
	s_waitcnt vmcnt(4)
	v_mad_u64_u32 v[15:16], s[0:1], s8, v17, 0
	v_mov_b32_e32 v9, v14
	v_lshlrev_b64 v[8:9], 4, v[8:9]
	v_mov_b32_e32 v10, v16
	v_mad_u64_u32 v[10:11], s[0:1], s9, v17, v[10:11]
	s_mov_b32 s0, 0xfc7729e9
	s_mov_b32 s1, 0x3f502864
	v_mov_b32_e32 v16, v10
	v_mul_f64 v[0:1], v[0:1], s[0:1]
	v_mul_f64 v[2:3], v[2:3], s[0:1]
	v_mov_b32_e32 v14, s3
	v_add_co_u32_e32 v17, vcc, s2, v8
	v_addc_co_u32_e32 v18, vcc, v14, v9, vcc
	v_lshlrev_b64 v[8:9], 4, v[15:16]
	s_mul_i32 s2, s9, 0x4e0
	v_add_co_u32_e32 v14, vcc, v17, v8
	v_addc_co_u32_e32 v15, vcc, v18, v9, vcc
	global_store_dwordx4 v[14:15], v[0:3], off
	s_mul_hi_u32 s3, s8, 0x4e0
	s_add_i32 s2, s3, s2
	s_mul_i32 s3, s8, 0x4e0
	v_mov_b32_e32 v18, s2
	v_add_co_u32_e32 v14, vcc, s3, v14
	v_addc_co_u32_e32 v15, vcc, v15, v18, vcc
	s_waitcnt vmcnt(1) lgkmcnt(0)
	v_mul_f64 v[10:11], v[22:23], v[6:7]
	v_mul_f64 v[12:13], v[22:23], v[4:5]
	v_fma_f64 v[10:11], v[20:21], v[4:5], v[10:11]
	v_fma_f64 v[12:13], v[20:21], v[6:7], -v[12:13]
	ds_read_b128 v[4:7], v19 offset:2496
	v_mul_f64 v[0:1], v[10:11], s[0:1]
	ds_read_b128 v[8:11], v19 offset:3744
	s_waitcnt lgkmcnt(1)
	v_mul_f64 v[20:21], v[34:35], v[4:5]
	v_mul_f64 v[16:17], v[34:35], v[6:7]
	;; [unrolled: 1-line block ×3, first 2 shown]
	v_fma_f64 v[6:7], v[32:33], v[6:7], -v[20:21]
	buffer_load_dword v20, off, s[48:51], 0 offset:64 ; 4-byte Folded Reload
	buffer_load_dword v21, off, s[48:51], 0 offset:68 ; 4-byte Folded Reload
	;; [unrolled: 1-line block ×4, first 2 shown]
	v_fma_f64 v[4:5], v[32:33], v[4:5], v[16:17]
	global_store_dwordx4 v[14:15], v[0:3], off
	v_add_co_u32_e32 v14, vcc, s3, v14
	v_addc_co_u32_e32 v15, vcc, v15, v18, vcc
	v_mul_f64 v[2:3], v[6:7], s[0:1]
	v_mul_f64 v[0:1], v[4:5], s[0:1]
	ds_read_b128 v[4:7], v19 offset:4992
	global_store_dwordx4 v[14:15], v[0:3], off
	v_add_co_u32_e32 v14, vcc, s3, v14
	v_addc_co_u32_e32 v15, vcc, v15, v18, vcc
	s_waitcnt vmcnt(2) lgkmcnt(1)
	v_mul_f64 v[12:13], v[22:23], v[10:11]
	v_mul_f64 v[16:17], v[22:23], v[8:9]
	v_fma_f64 v[12:13], v[20:21], v[8:9], v[12:13]
	v_fma_f64 v[16:17], v[20:21], v[10:11], -v[16:17]
	ds_read_b128 v[8:11], v19 offset:6240
	s_waitcnt lgkmcnt(1)
	v_mul_f64 v[20:21], v[46:47], v[6:7]
	v_mul_f64 v[22:23], v[46:47], v[4:5]
	v_mul_f64 v[0:1], v[12:13], s[0:1]
	v_mul_f64 v[2:3], v[16:17], s[0:1]
	v_fma_f64 v[4:5], v[44:45], v[4:5], v[20:21]
	v_fma_f64 v[6:7], v[44:45], v[6:7], -v[22:23]
	buffer_load_dword v20, off, s[48:51], 0 offset:96 ; 4-byte Folded Reload
	buffer_load_dword v21, off, s[48:51], 0 offset:100 ; 4-byte Folded Reload
	;; [unrolled: 1-line block ×4, first 2 shown]
	s_waitcnt vmcnt(0) lgkmcnt(0)
	v_mul_f64 v[12:13], v[22:23], v[10:11]
	v_mul_f64 v[16:17], v[22:23], v[8:9]
	global_store_dwordx4 v[14:15], v[0:3], off
	v_add_co_u32_e32 v14, vcc, s3, v14
	v_mul_f64 v[0:1], v[4:5], s[0:1]
	v_mul_f64 v[2:3], v[6:7], s[0:1]
	ds_read_b128 v[4:7], v19 offset:7488
	v_fma_f64 v[12:13], v[20:21], v[8:9], v[12:13]
	v_fma_f64 v[16:17], v[20:21], v[10:11], -v[16:17]
	ds_read_b128 v[8:11], v19 offset:8736
	buffer_load_dword v24, off, s[48:51], 0 offset:48 ; 4-byte Folded Reload
	buffer_load_dword v25, off, s[48:51], 0 offset:52 ; 4-byte Folded Reload
	buffer_load_dword v26, off, s[48:51], 0 offset:56 ; 4-byte Folded Reload
	buffer_load_dword v27, off, s[48:51], 0 offset:60 ; 4-byte Folded Reload
	v_addc_co_u32_e32 v15, vcc, v15, v18, vcc
	global_store_dwordx4 v[14:15], v[0:3], off
	v_add_co_u32_e32 v14, vcc, s3, v14
	v_mul_f64 v[0:1], v[12:13], s[0:1]
	v_mul_f64 v[2:3], v[16:17], s[0:1]
	s_waitcnt lgkmcnt(0)
	v_mul_f64 v[12:13], v[42:43], v[10:11]
	v_mul_f64 v[16:17], v[42:43], v[8:9]
	v_addc_co_u32_e32 v15, vcc, v15, v18, vcc
	global_store_dwordx4 v[14:15], v[0:3], off
	v_fma_f64 v[12:13], v[40:41], v[8:9], v[12:13]
	v_fma_f64 v[16:17], v[40:41], v[10:11], -v[16:17]
	ds_read_b128 v[8:11], v19 offset:11232
	v_add_co_u32_e32 v14, vcc, s3, v14
	v_addc_co_u32_e32 v15, vcc, v15, v18, vcc
	s_waitcnt vmcnt(2)
	v_mul_f64 v[20:21], v[26:27], v[6:7]
	v_mul_f64 v[22:23], v[26:27], v[4:5]
	v_fma_f64 v[4:5], v[24:25], v[4:5], v[20:21]
	v_fma_f64 v[6:7], v[24:25], v[6:7], -v[22:23]
	v_mul_f64 v[0:1], v[4:5], s[0:1]
	v_mul_f64 v[2:3], v[6:7], s[0:1]
	ds_read_b128 v[4:7], v19 offset:9984
	buffer_load_dword v24, off, s[48:51], 0 offset:80 ; 4-byte Folded Reload
	buffer_load_dword v25, off, s[48:51], 0 offset:84 ; 4-byte Folded Reload
	;; [unrolled: 1-line block ×4, first 2 shown]
	s_waitcnt vmcnt(0) lgkmcnt(0)
	v_mul_f64 v[20:21], v[26:27], v[6:7]
	v_mul_f64 v[22:23], v[26:27], v[4:5]
	global_store_dwordx4 v[14:15], v[0:3], off
	v_add_co_u32_e32 v14, vcc, s3, v14
	v_mul_f64 v[0:1], v[12:13], s[0:1]
	v_mul_f64 v[2:3], v[16:17], s[0:1]
	v_addc_co_u32_e32 v15, vcc, v15, v18, vcc
	v_fma_f64 v[4:5], v[24:25], v[4:5], v[20:21]
	v_fma_f64 v[6:7], v[24:25], v[6:7], -v[22:23]
	buffer_load_dword v20, off, s[48:51], 0 offset:32 ; 4-byte Folded Reload
	buffer_load_dword v21, off, s[48:51], 0 offset:36 ; 4-byte Folded Reload
	;; [unrolled: 1-line block ×4, first 2 shown]
	s_waitcnt vmcnt(0)
	v_mul_f64 v[12:13], v[22:23], v[10:11]
	v_mul_f64 v[16:17], v[22:23], v[8:9]
	global_store_dwordx4 v[14:15], v[0:3], off
	v_add_co_u32_e32 v14, vcc, s3, v14
	v_mul_f64 v[0:1], v[4:5], s[0:1]
	v_mul_f64 v[2:3], v[6:7], s[0:1]
	ds_read_b128 v[4:7], v19 offset:12480
	v_fma_f64 v[12:13], v[20:21], v[8:9], v[12:13]
	v_fma_f64 v[16:17], v[20:21], v[10:11], -v[16:17]
	ds_read_b128 v[8:11], v19 offset:13728
	v_addc_co_u32_e32 v15, vcc, v15, v18, vcc
	s_waitcnt lgkmcnt(1)
	v_mul_f64 v[20:21], v[38:39], v[6:7]
	v_mul_f64 v[22:23], v[38:39], v[4:5]
	global_store_dwordx4 v[14:15], v[0:3], off
	v_add_co_u32_e32 v14, vcc, s3, v14
	v_mul_f64 v[0:1], v[12:13], s[0:1]
	v_mul_f64 v[2:3], v[16:17], s[0:1]
	v_addc_co_u32_e32 v15, vcc, v15, v18, vcc
	v_fma_f64 v[12:13], v[36:37], v[4:5], v[20:21]
	v_fma_f64 v[16:17], v[36:37], v[6:7], -v[22:23]
	ds_read_b128 v[4:7], v19 offset:14976
	buffer_load_dword v26, off, s[48:51], 0 offset:16 ; 4-byte Folded Reload
	buffer_load_dword v27, off, s[48:51], 0 offset:20 ; 4-byte Folded Reload
	;; [unrolled: 1-line block ×4, first 2 shown]
	s_waitcnt vmcnt(0) lgkmcnt(1)
	v_mul_f64 v[18:19], v[28:29], v[10:11]
	v_mul_f64 v[20:21], v[28:29], v[8:9]
	buffer_load_dword v28, off, s[48:51], 0 offset:112 ; 4-byte Folded Reload
	buffer_load_dword v29, off, s[48:51], 0 offset:116 ; 4-byte Folded Reload
	;; [unrolled: 1-line block ×4, first 2 shown]
	v_fma_f64 v[8:9], v[26:27], v[8:9], v[18:19]
	global_store_dwordx4 v[14:15], v[0:3], off
	v_fma_f64 v[10:11], v[26:27], v[10:11], -v[20:21]
	v_mul_f64 v[0:1], v[12:13], s[0:1]
	v_mul_f64 v[2:3], v[16:17], s[0:1]
	v_mov_b32_e32 v13, s2
	v_add_co_u32_e32 v12, vcc, s3, v14
	v_addc_co_u32_e32 v13, vcc, v15, v13, vcc
	global_store_dwordx4 v[12:13], v[0:3], off
	s_nop 0
	v_mul_f64 v[0:1], v[8:9], s[0:1]
	v_mul_f64 v[2:3], v[10:11], s[0:1]
	v_mov_b32_e32 v9, s2
	v_add_co_u32_e32 v8, vcc, s3, v12
	v_addc_co_u32_e32 v9, vcc, v13, v9, vcc
	global_store_dwordx4 v[8:9], v[0:3], off
	s_nop 0
	v_mov_b32_e32 v1, s2
	v_add_co_u32_e32 v0, vcc, s3, v8
	v_addc_co_u32_e32 v1, vcc, v9, v1, vcc
	s_waitcnt vmcnt(3) lgkmcnt(0)
	v_mul_f64 v[22:23], v[30:31], v[6:7]
	v_mul_f64 v[24:25], v[30:31], v[4:5]
	v_fma_f64 v[4:5], v[28:29], v[4:5], v[22:23]
	v_fma_f64 v[6:7], v[28:29], v[6:7], -v[24:25]
	v_mul_f64 v[4:5], v[4:5], s[0:1]
	v_mul_f64 v[6:7], v[6:7], s[0:1]
	global_store_dwordx4 v[0:1], v[4:7], off
.LBB0_10:
	s_endpgm
	.section	.rodata,"a",@progbits
	.p2align	6, 0x0
	.amdhsa_kernel bluestein_single_fwd_len1014_dim1_dp_op_CI_CI
		.amdhsa_group_segment_fixed_size 32448
		.amdhsa_private_segment_fixed_size 152
		.amdhsa_kernarg_size 104
		.amdhsa_user_sgpr_count 6
		.amdhsa_user_sgpr_private_segment_buffer 1
		.amdhsa_user_sgpr_dispatch_ptr 0
		.amdhsa_user_sgpr_queue_ptr 0
		.amdhsa_user_sgpr_kernarg_segment_ptr 1
		.amdhsa_user_sgpr_dispatch_id 0
		.amdhsa_user_sgpr_flat_scratch_init 0
		.amdhsa_user_sgpr_private_segment_size 0
		.amdhsa_uses_dynamic_stack 0
		.amdhsa_system_sgpr_private_segment_wavefront_offset 1
		.amdhsa_system_sgpr_workgroup_id_x 1
		.amdhsa_system_sgpr_workgroup_id_y 0
		.amdhsa_system_sgpr_workgroup_id_z 0
		.amdhsa_system_sgpr_workgroup_info 0
		.amdhsa_system_vgpr_workitem_id 0
		.amdhsa_next_free_vgpr 256
		.amdhsa_next_free_sgpr 52
		.amdhsa_reserve_vcc 1
		.amdhsa_reserve_flat_scratch 0
		.amdhsa_float_round_mode_32 0
		.amdhsa_float_round_mode_16_64 0
		.amdhsa_float_denorm_mode_32 3
		.amdhsa_float_denorm_mode_16_64 3
		.amdhsa_dx10_clamp 1
		.amdhsa_ieee_mode 1
		.amdhsa_fp16_overflow 0
		.amdhsa_exception_fp_ieee_invalid_op 0
		.amdhsa_exception_fp_denorm_src 0
		.amdhsa_exception_fp_ieee_div_zero 0
		.amdhsa_exception_fp_ieee_overflow 0
		.amdhsa_exception_fp_ieee_underflow 0
		.amdhsa_exception_fp_ieee_inexact 0
		.amdhsa_exception_int_div_zero 0
	.end_amdhsa_kernel
	.text
.Lfunc_end0:
	.size	bluestein_single_fwd_len1014_dim1_dp_op_CI_CI, .Lfunc_end0-bluestein_single_fwd_len1014_dim1_dp_op_CI_CI
                                        ; -- End function
	.section	.AMDGPU.csdata,"",@progbits
; Kernel info:
; codeLenInByte = 23964
; NumSgprs: 56
; NumVgprs: 256
; ScratchSize: 152
; MemoryBound: 0
; FloatMode: 240
; IeeeMode: 1
; LDSByteSize: 32448 bytes/workgroup (compile time only)
; SGPRBlocks: 6
; VGPRBlocks: 63
; NumSGPRsForWavesPerEU: 56
; NumVGPRsForWavesPerEU: 256
; Occupancy: 1
; WaveLimiterHint : 1
; COMPUTE_PGM_RSRC2:SCRATCH_EN: 1
; COMPUTE_PGM_RSRC2:USER_SGPR: 6
; COMPUTE_PGM_RSRC2:TRAP_HANDLER: 0
; COMPUTE_PGM_RSRC2:TGID_X_EN: 1
; COMPUTE_PGM_RSRC2:TGID_Y_EN: 0
; COMPUTE_PGM_RSRC2:TGID_Z_EN: 0
; COMPUTE_PGM_RSRC2:TIDIG_COMP_CNT: 0
	.type	__hip_cuid_b9191f9d72b65429,@object ; @__hip_cuid_b9191f9d72b65429
	.section	.bss,"aw",@nobits
	.globl	__hip_cuid_b9191f9d72b65429
__hip_cuid_b9191f9d72b65429:
	.byte	0                               ; 0x0
	.size	__hip_cuid_b9191f9d72b65429, 1

	.ident	"AMD clang version 19.0.0git (https://github.com/RadeonOpenCompute/llvm-project roc-6.4.0 25133 c7fe45cf4b819c5991fe208aaa96edf142730f1d)"
	.section	".note.GNU-stack","",@progbits
	.addrsig
	.addrsig_sym __hip_cuid_b9191f9d72b65429
	.amdgpu_metadata
---
amdhsa.kernels:
  - .args:
      - .actual_access:  read_only
        .address_space:  global
        .offset:         0
        .size:           8
        .value_kind:     global_buffer
      - .actual_access:  read_only
        .address_space:  global
        .offset:         8
        .size:           8
        .value_kind:     global_buffer
      - .actual_access:  read_only
        .address_space:  global
        .offset:         16
        .size:           8
        .value_kind:     global_buffer
      - .actual_access:  read_only
        .address_space:  global
        .offset:         24
        .size:           8
        .value_kind:     global_buffer
      - .actual_access:  read_only
        .address_space:  global
        .offset:         32
        .size:           8
        .value_kind:     global_buffer
      - .offset:         40
        .size:           8
        .value_kind:     by_value
      - .address_space:  global
        .offset:         48
        .size:           8
        .value_kind:     global_buffer
      - .address_space:  global
        .offset:         56
        .size:           8
        .value_kind:     global_buffer
      - .address_space:  global
        .offset:         64
        .size:           8
        .value_kind:     global_buffer
      - .address_space:  global
        .offset:         72
        .size:           8
        .value_kind:     global_buffer
      - .offset:         80
        .size:           4
        .value_kind:     by_value
      - .address_space:  global
        .offset:         88
        .size:           8
        .value_kind:     global_buffer
      - .address_space:  global
        .offset:         96
        .size:           8
        .value_kind:     global_buffer
    .group_segment_fixed_size: 32448
    .kernarg_segment_align: 8
    .kernarg_segment_size: 104
    .language:       OpenCL C
    .language_version:
      - 2
      - 0
    .max_flat_workgroup_size: 156
    .name:           bluestein_single_fwd_len1014_dim1_dp_op_CI_CI
    .private_segment_fixed_size: 152
    .sgpr_count:     56
    .sgpr_spill_count: 0
    .symbol:         bluestein_single_fwd_len1014_dim1_dp_op_CI_CI.kd
    .uniform_work_group_size: 1
    .uses_dynamic_stack: false
    .vgpr_count:     256
    .vgpr_spill_count: 37
    .wavefront_size: 64
amdhsa.target:   amdgcn-amd-amdhsa--gfx906
amdhsa.version:
  - 1
  - 2
...

	.end_amdgpu_metadata
